;; amdgpu-corpus repo=ROCm/rocFFT kind=compiled arch=gfx906 opt=O3
	.text
	.amdgcn_target "amdgcn-amd-amdhsa--gfx906"
	.amdhsa_code_object_version 6
	.protected	fft_rtc_fwd_len1092_factors_2_2_13_7_3_wgs_52_tpt_52_halfLds_dp_ip_CI_unitstride_sbrr_dirReg ; -- Begin function fft_rtc_fwd_len1092_factors_2_2_13_7_3_wgs_52_tpt_52_halfLds_dp_ip_CI_unitstride_sbrr_dirReg
	.globl	fft_rtc_fwd_len1092_factors_2_2_13_7_3_wgs_52_tpt_52_halfLds_dp_ip_CI_unitstride_sbrr_dirReg
	.p2align	8
	.type	fft_rtc_fwd_len1092_factors_2_2_13_7_3_wgs_52_tpt_52_halfLds_dp_ip_CI_unitstride_sbrr_dirReg,@function
fft_rtc_fwd_len1092_factors_2_2_13_7_3_wgs_52_tpt_52_halfLds_dp_ip_CI_unitstride_sbrr_dirReg: ; @fft_rtc_fwd_len1092_factors_2_2_13_7_3_wgs_52_tpt_52_halfLds_dp_ip_CI_unitstride_sbrr_dirReg
; %bb.0:
	s_load_dwordx2 s[12:13], s[4:5], 0x50
	s_load_dwordx4 s[8:11], s[4:5], 0x0
	s_load_dwordx2 s[2:3], s[4:5], 0x18
	v_mul_u32_u24_e32 v1, 0x4ed, v0
	v_add_u32_sdwa v5, s6, v1 dst_sel:DWORD dst_unused:UNUSED_PAD src0_sel:DWORD src1_sel:WORD_1
	v_mov_b32_e32 v3, 0
	s_waitcnt lgkmcnt(0)
	v_cmp_lt_u64_e64 s[0:1], s[10:11], 2
	v_mov_b32_e32 v1, 0
	v_mov_b32_e32 v6, v3
	s_and_b64 vcc, exec, s[0:1]
	v_mov_b32_e32 v2, 0
	s_cbranch_vccnz .LBB0_8
; %bb.1:
	s_load_dwordx2 s[0:1], s[4:5], 0x10
	s_add_u32 s6, s2, 8
	s_addc_u32 s7, s3, 0
	v_mov_b32_e32 v1, 0
	v_mov_b32_e32 v2, 0
	s_waitcnt lgkmcnt(0)
	s_add_u32 s14, s0, 8
	s_addc_u32 s15, s1, 0
	s_mov_b64 s[16:17], 1
.LBB0_2:                                ; =>This Inner Loop Header: Depth=1
	s_load_dwordx2 s[18:19], s[14:15], 0x0
                                        ; implicit-def: $vgpr7_vgpr8
	s_waitcnt lgkmcnt(0)
	v_or_b32_e32 v4, s19, v6
	v_cmp_ne_u64_e32 vcc, 0, v[3:4]
	s_and_saveexec_b64 s[0:1], vcc
	s_xor_b64 s[20:21], exec, s[0:1]
	s_cbranch_execz .LBB0_4
; %bb.3:                                ;   in Loop: Header=BB0_2 Depth=1
	v_cvt_f32_u32_e32 v4, s18
	v_cvt_f32_u32_e32 v7, s19
	s_sub_u32 s0, 0, s18
	s_subb_u32 s1, 0, s19
	v_mac_f32_e32 v4, 0x4f800000, v7
	v_rcp_f32_e32 v4, v4
	v_mul_f32_e32 v4, 0x5f7ffffc, v4
	v_mul_f32_e32 v7, 0x2f800000, v4
	v_trunc_f32_e32 v7, v7
	v_mac_f32_e32 v4, 0xcf800000, v7
	v_cvt_u32_f32_e32 v7, v7
	v_cvt_u32_f32_e32 v4, v4
	v_mul_lo_u32 v8, s0, v7
	v_mul_hi_u32 v9, s0, v4
	v_mul_lo_u32 v11, s1, v4
	v_mul_lo_u32 v10, s0, v4
	v_add_u32_e32 v8, v9, v8
	v_add_u32_e32 v8, v8, v11
	v_mul_hi_u32 v9, v4, v10
	v_mul_lo_u32 v11, v4, v8
	v_mul_hi_u32 v13, v4, v8
	v_mul_hi_u32 v12, v7, v10
	v_mul_lo_u32 v10, v7, v10
	v_mul_hi_u32 v14, v7, v8
	v_add_co_u32_e32 v9, vcc, v9, v11
	v_addc_co_u32_e32 v11, vcc, 0, v13, vcc
	v_mul_lo_u32 v8, v7, v8
	v_add_co_u32_e32 v9, vcc, v9, v10
	v_addc_co_u32_e32 v9, vcc, v11, v12, vcc
	v_addc_co_u32_e32 v10, vcc, 0, v14, vcc
	v_add_co_u32_e32 v8, vcc, v9, v8
	v_addc_co_u32_e32 v9, vcc, 0, v10, vcc
	v_add_co_u32_e32 v4, vcc, v4, v8
	v_addc_co_u32_e32 v7, vcc, v7, v9, vcc
	v_mul_lo_u32 v8, s0, v7
	v_mul_hi_u32 v9, s0, v4
	v_mul_lo_u32 v10, s1, v4
	v_mul_lo_u32 v11, s0, v4
	v_add_u32_e32 v8, v9, v8
	v_add_u32_e32 v8, v8, v10
	v_mul_lo_u32 v12, v4, v8
	v_mul_hi_u32 v13, v4, v11
	v_mul_hi_u32 v14, v4, v8
	;; [unrolled: 1-line block ×3, first 2 shown]
	v_mul_lo_u32 v11, v7, v11
	v_mul_hi_u32 v9, v7, v8
	v_add_co_u32_e32 v12, vcc, v13, v12
	v_addc_co_u32_e32 v13, vcc, 0, v14, vcc
	v_mul_lo_u32 v8, v7, v8
	v_add_co_u32_e32 v11, vcc, v12, v11
	v_addc_co_u32_e32 v10, vcc, v13, v10, vcc
	v_addc_co_u32_e32 v9, vcc, 0, v9, vcc
	v_add_co_u32_e32 v8, vcc, v10, v8
	v_addc_co_u32_e32 v9, vcc, 0, v9, vcc
	v_add_co_u32_e32 v4, vcc, v4, v8
	v_addc_co_u32_e32 v9, vcc, v7, v9, vcc
	v_mad_u64_u32 v[7:8], s[0:1], v5, v9, 0
	v_mul_hi_u32 v10, v5, v4
	v_add_co_u32_e32 v11, vcc, v10, v7
	v_addc_co_u32_e32 v12, vcc, 0, v8, vcc
	v_mad_u64_u32 v[7:8], s[0:1], v6, v4, 0
	v_mad_u64_u32 v[9:10], s[0:1], v6, v9, 0
	v_add_co_u32_e32 v4, vcc, v11, v7
	v_addc_co_u32_e32 v4, vcc, v12, v8, vcc
	v_addc_co_u32_e32 v7, vcc, 0, v10, vcc
	v_add_co_u32_e32 v4, vcc, v4, v9
	v_addc_co_u32_e32 v9, vcc, 0, v7, vcc
	v_mul_lo_u32 v10, s19, v4
	v_mul_lo_u32 v11, s18, v9
	v_mad_u64_u32 v[7:8], s[0:1], s18, v4, 0
	v_add3_u32 v8, v8, v11, v10
	v_sub_u32_e32 v10, v6, v8
	v_mov_b32_e32 v11, s19
	v_sub_co_u32_e32 v7, vcc, v5, v7
	v_subb_co_u32_e64 v10, s[0:1], v10, v11, vcc
	v_subrev_co_u32_e64 v11, s[0:1], s18, v7
	v_subbrev_co_u32_e64 v10, s[0:1], 0, v10, s[0:1]
	v_cmp_le_u32_e64 s[0:1], s19, v10
	v_cndmask_b32_e64 v12, 0, -1, s[0:1]
	v_cmp_le_u32_e64 s[0:1], s18, v11
	v_cndmask_b32_e64 v11, 0, -1, s[0:1]
	v_cmp_eq_u32_e64 s[0:1], s19, v10
	v_cndmask_b32_e64 v10, v12, v11, s[0:1]
	v_add_co_u32_e64 v11, s[0:1], 2, v4
	v_addc_co_u32_e64 v12, s[0:1], 0, v9, s[0:1]
	v_add_co_u32_e64 v13, s[0:1], 1, v4
	v_addc_co_u32_e64 v14, s[0:1], 0, v9, s[0:1]
	v_subb_co_u32_e32 v8, vcc, v6, v8, vcc
	v_cmp_ne_u32_e64 s[0:1], 0, v10
	v_cmp_le_u32_e32 vcc, s19, v8
	v_cndmask_b32_e64 v10, v14, v12, s[0:1]
	v_cndmask_b32_e64 v12, 0, -1, vcc
	v_cmp_le_u32_e32 vcc, s18, v7
	v_cndmask_b32_e64 v7, 0, -1, vcc
	v_cmp_eq_u32_e32 vcc, s19, v8
	v_cndmask_b32_e32 v7, v12, v7, vcc
	v_cmp_ne_u32_e32 vcc, 0, v7
	v_cndmask_b32_e64 v7, v13, v11, s[0:1]
	v_cndmask_b32_e32 v8, v9, v10, vcc
	v_cndmask_b32_e32 v7, v4, v7, vcc
.LBB0_4:                                ;   in Loop: Header=BB0_2 Depth=1
	s_andn2_saveexec_b64 s[0:1], s[20:21]
	s_cbranch_execz .LBB0_6
; %bb.5:                                ;   in Loop: Header=BB0_2 Depth=1
	v_cvt_f32_u32_e32 v4, s18
	s_sub_i32 s20, 0, s18
	v_rcp_iflag_f32_e32 v4, v4
	v_mul_f32_e32 v4, 0x4f7ffffe, v4
	v_cvt_u32_f32_e32 v4, v4
	v_mul_lo_u32 v7, s20, v4
	v_mul_hi_u32 v7, v4, v7
	v_add_u32_e32 v4, v4, v7
	v_mul_hi_u32 v4, v5, v4
	v_mul_lo_u32 v7, v4, s18
	v_add_u32_e32 v8, 1, v4
	v_sub_u32_e32 v7, v5, v7
	v_subrev_u32_e32 v9, s18, v7
	v_cmp_le_u32_e32 vcc, s18, v7
	v_cndmask_b32_e32 v7, v7, v9, vcc
	v_cndmask_b32_e32 v4, v4, v8, vcc
	v_add_u32_e32 v8, 1, v4
	v_cmp_le_u32_e32 vcc, s18, v7
	v_cndmask_b32_e32 v7, v4, v8, vcc
	v_mov_b32_e32 v8, v3
.LBB0_6:                                ;   in Loop: Header=BB0_2 Depth=1
	s_or_b64 exec, exec, s[0:1]
	v_mul_lo_u32 v4, v8, s18
	v_mul_lo_u32 v11, v7, s19
	v_mad_u64_u32 v[9:10], s[0:1], v7, s18, 0
	s_load_dwordx2 s[0:1], s[6:7], 0x0
	s_add_u32 s16, s16, 1
	v_add3_u32 v4, v10, v11, v4
	v_sub_co_u32_e32 v5, vcc, v5, v9
	v_subb_co_u32_e32 v4, vcc, v6, v4, vcc
	s_waitcnt lgkmcnt(0)
	v_mul_lo_u32 v4, s0, v4
	v_mul_lo_u32 v6, s1, v5
	v_mad_u64_u32 v[1:2], s[0:1], s0, v5, v[1:2]
	s_addc_u32 s17, s17, 0
	s_add_u32 s6, s6, 8
	v_add3_u32 v2, v6, v2, v4
	v_mov_b32_e32 v4, s10
	v_mov_b32_e32 v5, s11
	s_addc_u32 s7, s7, 0
	v_cmp_ge_u64_e32 vcc, s[16:17], v[4:5]
	s_add_u32 s14, s14, 8
	s_addc_u32 s15, s15, 0
	s_cbranch_vccnz .LBB0_9
; %bb.7:                                ;   in Loop: Header=BB0_2 Depth=1
	v_mov_b32_e32 v5, v7
	v_mov_b32_e32 v6, v8
	s_branch .LBB0_2
.LBB0_8:
	v_mov_b32_e32 v8, v6
	v_mov_b32_e32 v7, v5
.LBB0_9:
	s_lshl_b64 s[0:1], s[10:11], 3
	s_add_u32 s0, s2, s0
	s_addc_u32 s1, s3, s1
	s_load_dwordx2 s[2:3], s[0:1], 0x0
	s_load_dwordx2 s[6:7], s[4:5], 0x20
                                        ; implicit-def: $vgpr88_vgpr89
                                        ; implicit-def: $vgpr52_vgpr53
                                        ; implicit-def: $vgpr44_vgpr45
                                        ; implicit-def: $vgpr32_vgpr33
                                        ; implicit-def: $vgpr48_vgpr49
                                        ; implicit-def: $vgpr36_vgpr37
                                        ; implicit-def: $vgpr72_vgpr73
                                        ; implicit-def: $vgpr40_vgpr41
                                        ; implicit-def: $vgpr84_vgpr85
                                        ; implicit-def: $vgpr12_vgpr13
                                        ; implicit-def: $vgpr92_vgpr93
                                        ; implicit-def: $vgpr28_vgpr29
                                        ; implicit-def: $vgpr80_vgpr81
                                        ; implicit-def: $vgpr24_vgpr25
                                        ; implicit-def: $vgpr76_vgpr77
                                        ; implicit-def: $vgpr20_vgpr21
                                        ; implicit-def: $vgpr96_vgpr97
                                        ; implicit-def: $vgpr16_vgpr17
                                        ; implicit-def: $vgpr100_vgpr101
                                        ; implicit-def: $vgpr126_vgpr127
                                        ; implicit-def: $vgpr104_vgpr105
	s_waitcnt lgkmcnt(0)
	v_mad_u64_u32 v[1:2], s[0:1], s2, v7, v[1:2]
	v_mul_lo_u32 v3, s2, v8
	v_mul_lo_u32 v4, s3, v7
	s_mov_b32 s0, 0x4ec4ec5
	v_mul_hi_u32 v5, v0, s0
	v_cmp_gt_u64_e64 s[0:1], s[6:7], v[7:8]
	v_add3_u32 v2, v4, v2, v3
	v_lshlrev_b64 v[144:145], 4, v[1:2]
	v_mul_u32_u24_e32 v3, 52, v5
	v_sub_u32_e32 v142, v0, v3
                                        ; implicit-def: $vgpr4_vgpr5
	s_and_saveexec_b64 s[2:3], s[0:1]
	s_cbranch_execz .LBB0_13
; %bb.10:
	v_mov_b32_e32 v143, 0
	v_mov_b32_e32 v0, s13
	v_add_co_u32_e32 v2, vcc, s12, v144
	v_addc_co_u32_e32 v3, vcc, v0, v145, vcc
	v_lshlrev_b64 v[0:1], 4, v[142:143]
	s_movk_i32 s4, 0x1000
	v_add_co_u32_e32 v0, vcc, v2, v0
	v_addc_co_u32_e32 v1, vcc, v3, v1, vcc
	v_add_co_u32_e32 v6, vcc, 0x2000, v0
	v_addc_co_u32_e32 v7, vcc, 0, v1, vcc
	;; [unrolled: 2-line block ×3, first 2 shown]
	s_movk_i32 s4, 0x3000
	v_add_co_u32_e32 v50, vcc, s4, v0
	global_load_dwordx4 v[14:17], v[6:7], off offset:1376
	global_load_dwordx4 v[18:21], v[6:7], off offset:2208
	;; [unrolled: 1-line block ×4, first 2 shown]
	v_addc_co_u32_e32 v51, vcc, 0, v1, vcc
	global_load_dwordx4 v[2:5], v[8:9], off offset:64
	global_load_dwordx4 v[10:13], v[8:9], off offset:896
	;; [unrolled: 1-line block ×10, first 2 shown]
	global_load_dwordx4 v[102:105], v[0:1], off
	global_load_dwordx4 v[98:101], v[0:1], off offset:832
	global_load_dwordx4 v[94:97], v[0:1], off offset:1664
	;; [unrolled: 1-line block ×4, first 2 shown]
                                        ; kill: killed $vgpr6 killed $vgpr7
                                        ; kill: killed $vgpr50 killed $vgpr51
                                        ; kill: killed $vgpr8 killed $vgpr9
	global_load_dwordx4 v[78:81], v[0:1], off offset:3328
	v_cmp_gt_u32_e32 vcc, 26, v142
                                        ; implicit-def: $vgpr50_vgpr51
                                        ; implicit-def: $vgpr86_vgpr87
	s_and_saveexec_b64 s[4:5], vcc
	s_cbranch_execz .LBB0_12
; %bb.11:
	v_add_co_u32_e32 v6, vcc, 0x2000, v0
	v_addc_co_u32_e32 v7, vcc, 0, v1, vcc
	v_add_co_u32_e32 v0, vcc, 0x4000, v0
	v_addc_co_u32_e32 v1, vcc, 0, v1, vcc
	global_load_dwordx4 v[50:53], v[6:7], off offset:128
	global_load_dwordx4 v[86:89], v[0:1], off offset:672
.LBB0_12:
	s_or_b64 exec, exec, s[4:5]
.LBB0_13:
	s_or_b64 exec, exec, s[2:3]
	s_waitcnt vmcnt(4)
	v_add_f64 v[56:57], v[98:99], -v[14:15]
	s_waitcnt vmcnt(3)
	v_add_f64 v[60:61], v[94:95], -v[18:19]
	;; [unrolled: 2-line block ×3, first 2 shown]
	v_add_f64 v[108:109], v[2:3], -v[90:91]
	v_add_f64 v[8:9], v[102:103], -v[124:125]
	v_add_u32_e32 v160, 52, v142
	v_add_u32_e32 v149, 0x68, v142
	v_add_f64 v[64:65], v[74:75], -v[22:23]
	v_fma_f64 v[54:55], v[98:99], 2.0, -v[56:57]
	v_fma_f64 v[58:59], v[94:95], 2.0, -v[60:61]
	v_lshl_add_u32 v22, v160, 4, 0
	v_lshl_add_u32 v23, v149, 4, 0
	v_add_f64 v[112:113], v[10:11], -v[82:83]
	v_add_f64 v[70:71], v[38:39], -v[70:71]
	v_fma_f64 v[66:67], v[78:79], 2.0, -v[68:69]
	v_fma_f64 v[106:107], v[2:3], 2.0, -v[108:109]
	ds_write_b128 v22, v[54:57]
	v_add_f64 v[56:57], v[34:35], -v[46:47]
	ds_write_b128 v23, v[58:61]
	v_add_f64 v[60:61], v[30:31], -v[42:43]
	v_add_f64 v[2:3], v[50:51], -v[86:87]
	v_fma_f64 v[6:7], v[102:103], 2.0, -v[8:9]
	v_add_u32_e32 v159, 0xd0, v142
	v_lshl_add_u32 v27, v159, 4, 0
	v_fma_f64 v[62:63], v[74:75], 2.0, -v[64:65]
	ds_write_b128 v27, v[66:69]
	v_fma_f64 v[110:111], v[10:11], 2.0, -v[112:113]
	v_fma_f64 v[68:69], v[38:39], 2.0, -v[70:71]
	;; [unrolled: 1-line block ×5, first 2 shown]
	v_lshl_add_u32 v19, v142, 4, 0
	ds_write_b128 v19, v[6:9]
	v_add_u32_e32 v6, 0x9c, v142
	v_add_u32_e32 v158, 0x104, v142
	;; [unrolled: 1-line block ×7, first 2 shown]
	v_lshl_add_u32 v26, v6, 4, 0
	v_lshl_add_u32 v42, v158, 4, 0
	;; [unrolled: 1-line block ×6, first 2 shown]
	v_cmp_gt_u32_e64 s[2:3], 26, v142
	v_lshl_add_u32 v30, v14, 4, 0
	ds_write_b128 v26, v[62:65]
	ds_write_b128 v42, v[106:109]
	;; [unrolled: 1-line block ×6, first 2 shown]
	s_and_saveexec_b64 s[4:5], s[2:3]
	s_cbranch_execz .LBB0_15
; %bb.14:
	ds_write_b128 v30, v[0:3]
.LBB0_15:
	s_or_b64 exec, exec, s[4:5]
	v_lshl_add_u32 v143, v142, 3, 0
	v_add_u32_e32 v8, 0x1000, v143
	s_waitcnt lgkmcnt(0)
	; wave barrier
	s_waitcnt lgkmcnt(0)
	ds_read2_b64 v[110:113], v143 offset1:52
	ds_read2_b64 v[68:71], v8 offset0:34 offset1:86
	ds_read2_b64 v[106:109], v143 offset0:104 offset1:156
	;; [unrolled: 1-line block ×3, first 2 shown]
	v_add_u32_e32 v8, 0x400, v143
	ds_read2_b64 v[114:117], v8 offset0:80 offset1:132
	v_add_u32_e32 v8, 0x1400, v143
	ds_read2_b64 v[64:67], v8 offset0:114 offset1:166
	v_add_u32_e32 v8, 0x800, v143
	v_add_u32_e32 v9, 0x1800, v143
	ds_read2_b64 v[118:121], v8 offset0:56 offset1:108
	ds_read2_b64 v[56:59], v9 offset0:90 offset1:142
	;; [unrolled: 1-line block ×4, first 2 shown]
	s_and_saveexec_b64 s[4:5], s[2:3]
	s_cbranch_execz .LBB0_17
; %bb.16:
	ds_read_b64 v[0:1], v143 offset:4160
	ds_read_b64 v[2:3], v143 offset:8528
.LBB0_17:
	s_or_b64 exec, exec, s[4:5]
	v_add_f64 v[94:95], v[104:105], -v[126:127]
	v_add_f64 v[74:75], v[52:53], -v[88:89]
	v_add_f64 v[102:103], v[100:101], -v[16:17]
	v_add_f64 v[98:99], v[96:97], -v[20:21]
	v_add_f64 v[46:47], v[76:77], -v[24:25]
	v_add_f64 v[50:51], v[80:81], -v[28:29]
	v_add_f64 v[78:79], v[4:5], -v[92:93]
	v_add_f64 v[82:83], v[12:13], -v[84:85]
	v_add_f64 v[86:87], v[40:41], -v[72:73]
	v_fma_f64 v[92:93], v[104:105], 2.0, -v[94:95]
	v_add_f64 v[90:91], v[36:37], -v[48:49]
	v_add_f64 v[128:129], v[32:33], -v[44:45]
	v_fma_f64 v[72:73], v[52:53], 2.0, -v[74:75]
	v_fma_f64 v[100:101], v[100:101], 2.0, -v[102:103]
	;; [unrolled: 1-line block ×10, first 2 shown]
	s_waitcnt lgkmcnt(0)
	; wave barrier
	s_waitcnt lgkmcnt(0)
	ds_write_b128 v19, v[92:95]
	ds_write_b128 v22, v[100:103]
	;; [unrolled: 1-line block ×10, first 2 shown]
	s_and_saveexec_b64 s[4:5], s[2:3]
	s_cbranch_execz .LBB0_19
; %bb.18:
	ds_write_b128 v30, v[72:75]
.LBB0_19:
	s_or_b64 exec, exec, s[4:5]
	v_add_u32_e32 v4, 0x1000, v143
	s_waitcnt lgkmcnt(0)
	; wave barrier
	s_waitcnt lgkmcnt(0)
	ds_read2_b64 v[92:95], v143 offset1:52
	ds_read2_b64 v[126:129], v4 offset0:34 offset1:86
	ds_read2_b64 v[76:79], v143 offset0:104 offset1:156
	;; [unrolled: 1-line block ×3, first 2 shown]
	v_add_u32_e32 v4, 0x400, v143
	ds_read2_b64 v[80:83], v4 offset0:80 offset1:132
	v_add_u32_e32 v4, 0x1400, v143
	ds_read2_b64 v[134:137], v4 offset0:114 offset1:166
	v_add_u32_e32 v4, 0x800, v143
	v_add_u32_e32 v5, 0x1800, v143
	ds_read2_b64 v[84:87], v4 offset0:56 offset1:108
	ds_read2_b64 v[96:99], v5 offset0:90 offset1:142
	;; [unrolled: 1-line block ×4, first 2 shown]
	v_lshlrev_b32_e32 v146, 1, v142
	v_lshlrev_b32_e32 v147, 1, v160
	;; [unrolled: 1-line block ×10, first 2 shown]
	s_and_saveexec_b64 s[4:5], s[2:3]
	s_cbranch_execz .LBB0_21
; %bb.20:
	ds_read_b64 v[72:73], v143 offset:4160
	ds_read_b64 v[74:75], v143 offset:8528
.LBB0_21:
	s_or_b64 exec, exec, s[4:5]
	v_and_b32_e32 v105, 1, v142
	v_lshlrev_b32_e32 v7, 4, v105
	global_load_dwordx4 v[138:141], v7, s[8:9]
	s_movk_i32 s7, 0x3fc
	s_movk_i32 s10, 0x2fc
	;; [unrolled: 1-line block ×4, first 2 shown]
	v_and_or_b32 v17, v152, s10, v105
	v_and_or_b32 v18, v104, s10, v105
	;; [unrolled: 1-line block ×4, first 2 shown]
	s_movk_i32 s5, 0xfc
	s_movk_i32 s6, 0x1fc
	v_and_or_b32 v7, v146, s4, v105
	v_and_or_b32 v6, v6, s7, v105
	v_lshl_add_u32 v166, v17, 3, 0
	v_lshl_add_u32 v167, v18, 3, 0
	;; [unrolled: 1-line block ×4, first 2 shown]
	v_and_or_b32 v12, v147, s5, v105
	v_and_or_b32 v13, v148, s6, v105
	v_lshl_add_u32 v161, v7, 3, 0
	v_lshl_add_u32 v169, v6, 3, 0
	v_and_or_b32 v15, v150, s6, v105
	v_and_or_b32 v16, v151, s7, v105
	v_lshl_add_u32 v162, v12, 3, 0
	v_lshl_add_u32 v163, v13, 3, 0
	;; [unrolled: 1-line block ×4, first 2 shown]
	s_waitcnt lgkmcnt(0)
	; wave barrier
	s_waitcnt vmcnt(0) lgkmcnt(0)
	v_mul_f64 v[4:5], v[126:127], v[140:141]
	v_mul_f64 v[17:18], v[102:103], v[140:141]
	;; [unrolled: 1-line block ×11, first 2 shown]
	v_fma_f64 v[4:5], v[68:69], v[138:139], -v[4:5]
	v_fma_f64 v[17:18], v[10:11], v[138:139], -v[17:18]
	;; [unrolled: 1-line block ×11, first 2 shown]
	v_add_f64 v[37:38], v[110:111], -v[4:5]
	v_add_f64 v[16:17], v[124:125], -v[17:18]
	;; [unrolled: 1-line block ×11, first 2 shown]
	v_fma_f64 v[26:27], v[110:111], 2.0, -v[37:38]
	v_fma_f64 v[22:23], v[124:125], 2.0, -v[16:17]
	;; [unrolled: 1-line block ×11, first 2 shown]
	v_lshlrev_b32_e32 v106, 1, v14
	ds_write2_b64 v161, v[26:27], v[37:38] offset1:2
	ds_write2_b64 v162, v[34:35], v[39:40] offset1:2
	;; [unrolled: 1-line block ×10, first 2 shown]
	s_and_saveexec_b64 s[4:5], s[2:3]
	s_cbranch_execz .LBB0_23
; %bb.22:
	s_movk_i32 s6, 0x47c
	v_and_or_b32 v0, v106, s6, v105
	v_lshl_add_u32 v0, v0, 3, 0
	ds_write2_b64 v0, v[18:19], v[24:25] offset1:2
.LBB0_23:
	s_or_b64 exec, exec, s[4:5]
	v_add_u32_e32 v0, 0xc00, v143
	s_waitcnt lgkmcnt(0)
	; wave barrier
	s_waitcnt lgkmcnt(0)
	ds_read2_b64 v[12:15], v143 offset1:84
	ds_read2_b64 v[52:55], v143 offset0:168 offset1:252
	v_add_u32_e32 v1, 0x800, v143
	ds_read2_b64 v[44:47], v0 offset0:120 offset1:204
	v_add_u32_e32 v26, 0x1000, v143
	v_add_u32_e32 v0, 0x1800, v143
	ds_read2_b64 v[48:51], v1 offset0:80 offset1:164
	ds_read2_b64 v[40:43], v26 offset0:160 offset1:244
	;; [unrolled: 1-line block ×3, first 2 shown]
	ds_read_b64 v[155:156], v143 offset:8064
	v_cmp_gt_u32_e32 vcc, 32, v142
                                        ; implicit-def: $vgpr153_vgpr154
                                        ; implicit-def: $vgpr34_vgpr35
	s_and_saveexec_b64 s[4:5], vcc
	s_cbranch_execz .LBB0_25
; %bb.24:
	v_add_u32_e32 v16, 0x400, v143
	ds_read2_b64 v[4:7], v143 offset0:52 offset1:136
	ds_read2_b64 v[28:31], v16 offset0:92 offset1:176
	;; [unrolled: 1-line block ×4, first 2 shown]
	v_add_u32_e32 v1, 0x1400, v143
	ds_read2_b64 v[24:27], v1 offset0:84 offset1:168
	ds_read2_b64 v[32:35], v0 offset0:124 offset1:208
	ds_read_b64 v[153:154], v143 offset:8480
.LBB0_25:
	s_or_b64 exec, exec, s[4:5]
	v_mul_f64 v[0:1], v[68:69], v[140:141]
	v_mul_f64 v[68:69], v[70:71], v[140:141]
	;; [unrolled: 1-line block ×8, first 2 shown]
	v_fma_f64 v[0:1], v[126:127], v[138:139], v[0:1]
	v_mul_f64 v[2:3], v[2:3], v[140:141]
	v_mul_f64 v[62:63], v[62:63], v[140:141]
	v_fma_f64 v[68:69], v[128:129], v[138:139], v[68:69]
	v_mul_f64 v[66:67], v[66:67], v[140:141]
	v_fma_f64 v[60:61], v[130:131], v[138:139], v[60:61]
	v_fma_f64 v[64:65], v[134:135], v[138:139], v[64:65]
	;; [unrolled: 1-line block ×3, first 2 shown]
	v_add_f64 v[70:71], v[92:93], -v[0:1]
	v_fma_f64 v[0:1], v[96:97], v[138:139], v[56:57]
	v_fma_f64 v[56:57], v[98:99], v[138:139], v[58:59]
	v_fma_f64 v[10:11], v[102:103], v[138:139], v[10:11]
	v_fma_f64 v[2:3], v[74:75], v[138:139], v[2:3]
	v_fma_f64 v[62:63], v[132:133], v[138:139], v[62:63]
	v_add_f64 v[107:108], v[94:95], -v[68:69]
	v_fma_f64 v[66:67], v[136:137], v[138:139], v[66:67]
	v_add_f64 v[109:110], v[76:77], -v[60:61]
	v_add_f64 v[96:97], v[80:81], -v[64:65]
	;; [unrolled: 1-line block ×6, first 2 shown]
	v_fma_f64 v[74:75], v[92:93], 2.0, -v[70:71]
	v_fma_f64 v[92:93], v[94:95], 2.0, -v[107:108]
	v_add_f64 v[94:95], v[78:79], -v[62:63]
	v_add_f64 v[98:99], v[82:83], -v[66:67]
	v_add_f64 v[0:1], v[84:85], -v[0:1]
	v_fma_f64 v[2:3], v[86:87], 2.0, -v[56:57]
	v_fma_f64 v[58:59], v[88:89], 2.0, -v[60:61]
	v_fma_f64 v[62:63], v[90:91], 2.0, -v[64:65]
	v_fma_f64 v[66:67], v[72:73], 2.0, -v[68:69]
	v_fma_f64 v[76:77], v[76:77], 2.0, -v[109:110]
	v_fma_f64 v[8:9], v[78:79], 2.0, -v[94:95]
	v_fma_f64 v[10:11], v[80:81], 2.0, -v[96:97]
	v_fma_f64 v[78:79], v[82:83], 2.0, -v[98:99]
	v_fma_f64 v[80:81], v[84:85], 2.0, -v[0:1]
	s_waitcnt lgkmcnt(0)
	; wave barrier
	s_waitcnt lgkmcnt(0)
	ds_write2_b64 v161, v[74:75], v[70:71] offset1:2
	ds_write2_b64 v162, v[92:93], v[107:108] offset1:2
	;; [unrolled: 1-line block ×10, first 2 shown]
	s_and_saveexec_b64 s[4:5], s[2:3]
	s_cbranch_execz .LBB0_27
; %bb.26:
	s_movk_i32 s2, 0x47c
	v_and_or_b32 v8, v106, s2, v105
	v_lshl_add_u32 v8, v8, 3, 0
	ds_write2_b64 v8, v[66:67], v[68:69] offset1:2
.LBB0_27:
	s_or_b64 exec, exec, s[4:5]
	v_add_u32_e32 v71, 0xc00, v143
	s_waitcnt lgkmcnt(0)
	; wave barrier
	s_waitcnt lgkmcnt(0)
	ds_read2_b64 v[8:11], v143 offset1:84
	ds_read2_b64 v[92:95], v143 offset0:168 offset1:252
	v_add_u32_e32 v70, 0x800, v143
	ds_read2_b64 v[84:87], v71 offset0:120 offset1:204
	v_add_u32_e32 v71, 0x1000, v143
	v_add_u32_e32 v72, 0x1800, v143
	ds_read2_b64 v[88:91], v70 offset0:80 offset1:164
	ds_read2_b64 v[80:83], v71 offset0:160 offset1:244
	ds_read2_b64 v[76:79], v72 offset0:72 offset1:156
	ds_read_b64 v[131:132], v143 offset:8064
                                        ; implicit-def: $vgpr129_vgpr130
                                        ; implicit-def: $vgpr74_vgpr75
	s_and_saveexec_b64 s[2:3], vcc
	s_cbranch_execz .LBB0_29
; %bb.28:
	v_add_u32_e32 v56, 0x400, v143
	v_add_u32_e32 v68, 0x1400, v143
	ds_read2_b64 v[0:3], v143 offset0:52 offset1:136
	ds_read2_b64 v[56:59], v56 offset0:92 offset1:176
	;; [unrolled: 1-line block ×6, first 2 shown]
	ds_read_b64 v[129:130], v143 offset:8480
.LBB0_29:
	s_or_b64 exec, exec, s[2:3]
	v_and_b32_e32 v133, 3, v142
	v_mul_u32_u24_e32 v96, 12, v133
	v_lshlrev_b32_e32 v96, 4, v96
	global_load_dwordx4 v[134:137], v96, s[8:9] offset:32
	global_load_dwordx4 v[138:141], v96, s[8:9] offset:48
	;; [unrolled: 1-line block ×12, first 2 shown]
	s_mov_b32 s30, 0x4267c47c
	s_mov_b32 s31, 0xbfddbe06
	;; [unrolled: 1-line block ×36, first 2 shown]
	s_waitcnt lgkmcnt(0)
	; wave barrier
	s_waitcnt vmcnt(11) lgkmcnt(0)
	v_mul_f64 v[98:99], v[14:15], v[136:137]
	s_waitcnt vmcnt(10)
	v_mul_f64 v[100:101], v[92:93], v[140:141]
	v_mul_f64 v[96:97], v[10:11], v[136:137]
	s_waitcnt vmcnt(8)
	v_mul_f64 v[117:118], v[48:49], v[167:168]
	v_mul_f64 v[102:103], v[52:53], v[140:141]
	;; [unrolled: 1-line block ×3, first 2 shown]
	s_waitcnt vmcnt(7)
	v_mul_f64 v[121:122], v[90:91], v[171:172]
	v_mul_f64 v[127:128], v[50:51], v[171:172]
	s_waitcnt vmcnt(5)
	v_mul_f64 v[207:208], v[46:47], v[179:180]
	s_waitcnt vmcnt(2)
	v_mul_f64 v[217:218], v[76:77], v[191:192]
	v_mul_f64 v[219:220], v[36:37], v[191:192]
	s_waitcnt vmcnt(0)
	v_mul_f64 v[227:228], v[155:156], v[199:200]
	v_mul_f64 v[221:222], v[78:79], v[195:196]
	;; [unrolled: 1-line block ×5, first 2 shown]
	v_fma_f64 v[125:126], v[10:11], v[134:135], v[98:99]
	v_fma_f64 v[119:120], v[52:53], v[138:139], -v[100:101]
	v_fma_f64 v[100:101], v[88:89], v[165:166], v[117:118]
	v_fma_f64 v[117:118], v[36:37], v[189:190], -v[217:218]
	v_fma_f64 v[36:37], v[131:132], v[197:198], v[227:228]
	v_mul_f64 v[105:106], v[94:95], v[163:164]
	v_mul_f64 v[109:110], v[88:89], v[167:168]
	;; [unrolled: 1-line block ×8, first 2 shown]
	v_fma_f64 v[123:124], v[14:15], v[134:135], -v[96:97]
	v_fma_f64 v[113:114], v[92:93], v[138:139], v[102:103]
	v_fma_f64 v[111:112], v[94:95], v[161:162], v[107:108]
	v_fma_f64 v[96:97], v[50:51], v[169:170], -v[121:122]
	v_fma_f64 v[94:95], v[90:91], v[169:170], v[127:128]
	v_fma_f64 v[14:15], v[86:87], v[177:178], v[207:208]
	v_fma_f64 v[121:122], v[38:39], v[193:194], -v[221:222]
	v_fma_f64 v[38:39], v[78:79], v[193:194], v[223:224]
	v_fma_f64 v[127:128], v[155:156], v[197:198], -v[225:226]
	v_fma_f64 v[86:87], v[6:7], v[134:135], -v[229:230]
	v_add_f64 v[6:7], v[125:126], -v[36:37]
	v_mul_f64 v[203:204], v[44:45], v[175:176]
	v_mul_f64 v[209:210], v[80:81], v[183:184]
	;; [unrolled: 1-line block ×16, first 2 shown]
	v_fma_f64 v[102:103], v[48:49], v[165:166], -v[109:110]
	v_fma_f64 v[90:91], v[44:45], v[173:174], -v[201:202]
	v_add_f64 v[44:45], v[12:13], v[123:124]
	v_fma_f64 v[92:93], v[46:47], v[177:178], -v[205:206]
	v_fma_f64 v[109:110], v[76:77], v[189:190], v[219:220]
	v_fma_f64 v[76:77], v[20:21], v[165:166], -v[235:236]
	v_fma_f64 v[52:53], v[22:23], v[169:170], -v[237:238]
	;; [unrolled: 1-line block ×3, first 2 shown]
	v_add_f64 v[16:17], v[123:124], v[127:128]
	v_add_f64 v[20:21], v[113:114], -v[38:39]
	v_mul_f64 v[22:23], v[6:7], s[30:31]
	v_mul_f64 v[163:164], v[30:31], v[163:164]
	;; [unrolled: 1-line block ×9, first 2 shown]
	v_fma_f64 v[115:116], v[54:55], v[161:162], -v[105:106]
	v_fma_f64 v[10:11], v[84:85], v[173:174], v[203:204]
	v_fma_f64 v[98:99], v[40:41], v[181:182], -v[209:210]
	v_fma_f64 v[40:41], v[80:81], v[181:182], v[211:212]
	v_fma_f64 v[107:108], v[42:43], v[185:186], -v[213:214]
	v_fma_f64 v[105:106], v[82:83], v[185:186], v[215:216]
	v_add_f64 v[42:43], v[44:45], v[119:120]
	v_fma_f64 v[82:83], v[28:29], v[138:139], -v[231:232]
	v_fma_f64 v[84:85], v[56:57], v[138:139], v[140:141]
	v_fma_f64 v[80:81], v[30:31], v[161:162], -v[233:234]
	v_fma_f64 v[50:51], v[62:63], v[169:170], v[171:172]
	v_fma_f64 v[48:49], v[18:19], v[177:178], -v[241:242]
	v_fma_f64 v[44:45], v[66:67], v[177:178], v[179:180]
	v_fma_f64 v[56:57], v[24:25], v[181:182], -v[243:244]
	v_fma_f64 v[62:63], v[26:27], v[185:186], -v[245:246]
	;; [unrolled: 1-line block ×3, first 2 shown]
	v_add_f64 v[18:19], v[119:120], v[121:122]
	v_mul_f64 v[24:25], v[6:7], s[20:21]
	v_mul_f64 v[26:27], v[6:7], s[26:27]
	;; [unrolled: 1-line block ×6, first 2 shown]
	v_fma_f64 v[131:132], v[16:17], s[4:5], -v[22:23]
	v_fma_f64 v[22:23], v[16:17], s[4:5], v[22:23]
	v_fma_f64 v[88:89], v[2:3], v[134:135], v[136:137]
	v_add_f64 v[2:3], v[42:43], v[115:116]
	v_fma_f64 v[78:79], v[58:59], v[161:162], v[163:164]
	v_fma_f64 v[58:59], v[60:61], v[165:166], v[167:168]
	;; [unrolled: 1-line block ×6, first 2 shown]
	v_fma_f64 v[72:73], v[34:35], v[193:194], -v[249:250]
	v_fma_f64 v[70:71], v[74:75], v[193:194], v[195:196]
	v_fma_f64 v[74:75], v[153:154], v[197:198], -v[251:252]
	v_fma_f64 v[68:69], v[129:130], v[197:198], v[199:200]
	v_mul_f64 v[34:35], v[20:21], s[14:15]
	v_mul_f64 v[129:130], v[20:21], s[24:25]
	v_fma_f64 v[134:135], v[16:17], s[2:3], -v[24:25]
	v_fma_f64 v[24:25], v[16:17], s[2:3], v[24:25]
	v_fma_f64 v[136:137], v[16:17], s[6:7], -v[26:27]
	v_fma_f64 v[26:27], v[16:17], s[6:7], v[26:27]
	v_fma_f64 v[138:139], v[16:17], s[10:11], -v[28:29]
	v_fma_f64 v[28:29], v[16:17], s[10:11], v[28:29]
	v_fma_f64 v[140:141], v[16:17], s[16:17], -v[30:31]
	v_fma_f64 v[30:31], v[16:17], s[16:17], v[30:31]
	v_fma_f64 v[153:154], v[16:17], s[22:23], -v[6:7]
	v_fma_f64 v[6:7], v[16:17], s[22:23], v[6:7]
	v_fma_f64 v[16:17], v[18:19], s[2:3], -v[32:33]
	v_fma_f64 v[32:33], v[18:19], s[2:3], v[32:33]
	v_add_f64 v[131:132], v[12:13], v[131:132]
	v_add_f64 v[22:23], v[12:13], v[22:23]
	;; [unrolled: 1-line block ×14, first 2 shown]
	v_fma_f64 v[22:23], v[18:19], s[10:11], -v[34:35]
	v_fma_f64 v[32:33], v[18:19], s[10:11], v[34:35]
	v_fma_f64 v[34:35], v[18:19], s[22:23], -v[129:130]
	v_mul_f64 v[131:132], v[20:21], s[36:37]
	v_mul_f64 v[155:156], v[20:21], s[28:29]
	;; [unrolled: 1-line block ×3, first 2 shown]
	v_add_f64 v[161:162], v[115:116], v[117:118]
	v_add_f64 v[2:3], v[2:3], v[102:103]
	;; [unrolled: 1-line block ×5, first 2 shown]
	v_fma_f64 v[34:35], v[18:19], s[22:23], v[129:130]
	v_fma_f64 v[129:130], v[18:19], s[16:17], -v[131:132]
	v_add_f64 v[134:135], v[111:112], -v[109:110]
	v_fma_f64 v[131:132], v[18:19], s[16:17], v[131:132]
	v_fma_f64 v[136:137], v[18:19], s[6:7], -v[155:156]
	v_fma_f64 v[155:156], v[18:19], s[6:7], v[155:156]
	v_add_f64 v[2:3], v[2:3], v[96:97]
	v_add_f64 v[26:27], v[34:35], v[26:27]
	;; [unrolled: 1-line block ×3, first 2 shown]
	v_mul_f64 v[163:164], v[134:135], s[26:27]
	v_add_f64 v[28:29], v[131:132], v[28:29]
	v_add_f64 v[129:130], v[136:137], v[140:141]
	v_fma_f64 v[131:132], v[18:19], s[4:5], -v[20:21]
	v_fma_f64 v[18:19], v[18:19], s[4:5], v[20:21]
	v_mul_f64 v[136:137], v[134:135], s[24:25]
	v_mul_f64 v[140:141], v[134:135], s[42:43]
	v_add_f64 v[30:31], v[155:156], v[30:31]
	v_fma_f64 v[20:21], v[161:162], s[6:7], -v[163:164]
	v_fma_f64 v[138:139], v[161:162], s[6:7], v[163:164]
	v_add_f64 v[2:3], v[2:3], v[90:91]
	v_add_f64 v[131:132], v[131:132], v[153:154]
	;; [unrolled: 1-line block ×3, first 2 shown]
	v_mul_f64 v[18:19], v[134:135], s[34:35]
	v_fma_f64 v[153:154], v[161:162], s[22:23], -v[136:137]
	v_fma_f64 v[136:137], v[161:162], s[22:23], v[136:137]
	v_add_f64 v[12:13], v[20:21], v[12:13]
	v_add_f64 v[16:17], v[138:139], v[16:17]
	v_fma_f64 v[20:21], v[161:162], s[10:11], -v[140:141]
	v_fma_f64 v[138:139], v[161:162], s[10:11], v[140:141]
	v_mul_f64 v[140:141], v[134:135], s[20:21]
	v_fma_f64 v[155:156], v[161:162], s[4:5], -v[18:19]
	v_fma_f64 v[18:19], v[161:162], s[4:5], v[18:19]
	v_add_f64 v[24:25], v[136:137], v[24:25]
	v_add_f64 v[136:137], v[100:101], -v[105:106]
	v_mul_f64 v[134:135], v[134:135], s[18:19]
	v_add_f64 v[22:23], v[153:154], v[22:23]
	v_add_f64 v[20:21], v[20:21], v[32:33]
	;; [unrolled: 1-line block ×3, first 2 shown]
	v_fma_f64 v[32:33], v[161:162], s[2:3], -v[140:141]
	v_add_f64 v[138:139], v[102:103], v[107:108]
	v_add_f64 v[18:19], v[18:19], v[28:29]
	v_mul_f64 v[153:154], v[136:137], s[14:15]
	v_fma_f64 v[28:29], v[161:162], s[2:3], v[140:141]
	v_mul_f64 v[140:141], v[136:137], s[36:37]
	v_add_f64 v[34:35], v[155:156], v[34:35]
	v_fma_f64 v[155:156], v[161:162], s[16:17], -v[134:135]
	v_fma_f64 v[134:135], v[161:162], s[16:17], v[134:135]
	v_add_f64 v[32:33], v[32:33], v[129:130]
	v_mul_f64 v[129:130], v[136:137], s[34:35]
	v_fma_f64 v[161:162], v[138:139], s[10:11], -v[153:154]
	v_fma_f64 v[153:154], v[138:139], s[10:11], v[153:154]
	v_add_f64 v[28:29], v[28:29], v[30:31]
	v_fma_f64 v[30:31], v[138:139], s[16:17], -v[140:141]
	v_fma_f64 v[140:141], v[138:139], s[16:17], v[140:141]
	v_add_f64 v[6:7], v[134:135], v[6:7]
	v_mul_f64 v[134:135], v[136:137], s[26:27]
	v_fma_f64 v[163:164], v[138:139], s[4:5], -v[129:130]
	v_add_f64 v[131:132], v[155:156], v[131:132]
	v_add_f64 v[16:17], v[153:154], v[16:17]
	v_add_f64 v[153:154], v[94:95], -v[40:41]
	v_add_f64 v[22:23], v[30:31], v[22:23]
	v_fma_f64 v[30:31], v[138:139], s[4:5], v[129:130]
	v_mul_f64 v[129:130], v[136:137], s[40:41]
	v_add_f64 v[24:25], v[140:141], v[24:25]
	v_fma_f64 v[140:141], v[138:139], s[6:7], -v[134:135]
	v_fma_f64 v[134:135], v[138:139], s[6:7], v[134:135]
	v_mul_f64 v[136:137], v[136:137], s[38:39]
	v_add_f64 v[12:13], v[161:162], v[12:13]
	v_add_f64 v[155:156], v[96:97], v[98:99]
	;; [unrolled: 1-line block ×3, first 2 shown]
	v_fma_f64 v[30:31], v[138:139], s[22:23], -v[129:130]
	v_mul_f64 v[161:162], v[153:154], s[18:19]
	v_add_f64 v[34:35], v[140:141], v[34:35]
	v_fma_f64 v[129:130], v[138:139], s[22:23], v[129:130]
	v_add_f64 v[18:19], v[134:135], v[18:19]
	v_fma_f64 v[134:135], v[138:139], s[2:3], -v[136:137]
	v_mul_f64 v[140:141], v[153:154], s[28:29]
	v_fma_f64 v[136:137], v[138:139], s[2:3], v[136:137]
	v_add_f64 v[30:31], v[30:31], v[32:33]
	v_fma_f64 v[32:33], v[155:156], s[16:17], -v[161:162]
	v_mul_f64 v[138:139], v[153:154], s[20:21]
	v_add_f64 v[28:29], v[129:130], v[28:29]
	v_fma_f64 v[129:130], v[155:156], s[16:17], v[161:162]
	v_add_f64 v[131:132], v[134:135], v[131:132]
	v_fma_f64 v[134:135], v[155:156], s[6:7], -v[140:141]
	v_add_f64 v[6:7], v[136:137], v[6:7]
	v_fma_f64 v[136:137], v[155:156], s[6:7], v[140:141]
	v_add_f64 v[20:21], v[163:164], v[20:21]
	v_add_f64 v[12:13], v[32:33], v[12:13]
	v_fma_f64 v[32:33], v[155:156], s[2:3], -v[138:139]
	v_mul_f64 v[140:141], v[153:154], s[40:41]
	v_add_f64 v[2:3], v[2:3], v[92:93]
	v_add_f64 v[16:17], v[129:130], v[16:17]
	v_fma_f64 v[129:130], v[155:156], s[2:3], v[138:139]
	v_add_f64 v[22:23], v[134:135], v[22:23]
	v_mul_f64 v[134:135], v[153:154], s[34:35]
	v_add_f64 v[24:25], v[136:137], v[24:25]
	v_add_f64 v[136:137], v[10:11], -v[14:15]
	v_add_f64 v[20:21], v[32:33], v[20:21]
	v_fma_f64 v[32:33], v[155:156], s[22:23], -v[140:141]
	v_mul_f64 v[138:139], v[153:154], s[14:15]
	v_add_f64 v[2:3], v[2:3], v[98:99]
	v_add_f64 v[26:27], v[129:130], v[26:27]
	v_fma_f64 v[129:130], v[155:156], s[22:23], v[140:141]
	v_fma_f64 v[140:141], v[155:156], s[4:5], -v[134:135]
	v_add_f64 v[153:154], v[90:91], v[92:93]
	v_mul_f64 v[161:162], v[136:137], s[24:25]
	v_fma_f64 v[134:135], v[155:156], s[4:5], v[134:135]
	v_add_f64 v[32:33], v[32:33], v[34:35]
	v_fma_f64 v[34:35], v[155:156], s[10:11], -v[138:139]
	v_mul_f64 v[163:164], v[136:137], s[34:35]
	v_add_f64 v[2:3], v[2:3], v[107:108]
	v_fma_f64 v[138:139], v[155:156], s[10:11], v[138:139]
	v_add_f64 v[18:19], v[129:130], v[18:19]
	v_fma_f64 v[129:130], v[153:154], s[22:23], -v[161:162]
	v_add_f64 v[28:29], v[134:135], v[28:29]
	v_fma_f64 v[134:135], v[153:154], s[22:23], v[161:162]
	v_add_f64 v[34:35], v[34:35], v[131:132]
	v_fma_f64 v[131:132], v[153:154], s[4:5], -v[163:164]
	v_add_f64 v[2:3], v[2:3], v[117:118]
	v_add_f64 v[30:31], v[140:141], v[30:31]
	v_mul_f64 v[140:141], v[136:137], s[18:19]
	v_add_f64 v[6:7], v[138:139], v[6:7]
	v_fma_f64 v[138:139], v[153:154], s[4:5], v[163:164]
	v_add_f64 v[12:13], v[129:130], v[12:13]
	v_mul_f64 v[129:130], v[136:137], s[38:39]
	v_add_f64 v[16:17], v[134:135], v[16:17]
	v_mul_f64 v[134:135], v[136:137], s[14:15]
	;; [unrolled: 2-line block ×3, first 2 shown]
	v_add_f64 v[2:3], v[2:3], v[121:122]
	v_fma_f64 v[136:137], v[153:154], s[16:17], -v[140:141]
	v_add_f64 v[24:25], v[138:139], v[24:25]
	v_fma_f64 v[138:139], v[153:154], s[16:17], v[140:141]
	v_fma_f64 v[140:141], v[153:154], s[2:3], -v[129:130]
	v_fma_f64 v[155:156], v[153:154], s[10:11], -v[134:135]
	v_fma_f64 v[129:130], v[153:154], s[2:3], v[129:130]
	v_fma_f64 v[161:162], v[153:154], s[6:7], -v[131:132]
	v_fma_f64 v[131:132], v[153:154], s[6:7], v[131:132]
	v_fma_f64 v[134:135], v[153:154], s[10:11], v[134:135]
	v_add_f64 v[2:3], v[2:3], v[127:128]
	v_add_f64 v[20:21], v[136:137], v[20:21]
	;; [unrolled: 1-line block ×8, first 2 shown]
	v_lshrrev_b32_e32 v129, 2, v142
	v_add_f64 v[26:27], v[138:139], v[26:27]
	v_mul_u32_u24_e32 v129, 52, v129
	v_or_b32_e32 v129, v129, v133
	v_lshl_add_u32 v130, v129, 3, 0
	v_lshrrev_b32_e32 v129, 2, v160
	ds_write2_b64 v130, v[2:3], v[12:13] offset1:4
	ds_write2_b64 v130, v[22:23], v[20:21] offset0:8 offset1:12
	ds_write2_b64 v130, v[32:33], v[30:31] offset0:16 offset1:20
	ds_write2_b64 v130, v[34:35], v[6:7] offset0:24 offset1:28
	ds_write2_b64 v130, v[28:29], v[18:19] offset0:32 offset1:36
	ds_write2_b64 v130, v[26:27], v[24:25] offset0:40 offset1:44
	ds_write_b64 v130, v[16:17] offset:384
	s_and_saveexec_b64 s[44:45], vcc
	s_cbranch_execz .LBB0_31
; %bb.30:
	v_add_f64 v[2:3], v[88:89], -v[68:69]
	v_add_f64 v[20:21], v[84:85], -v[70:71]
	v_add_f64 v[22:23], v[86:87], v[74:75]
	v_add_f64 v[32:33], v[78:79], -v[64:65]
	v_add_f64 v[34:35], v[82:83], v[72:73]
	;; [unrolled: 2-line block ×3, first 2 shown]
	v_add_f64 v[18:19], v[50:51], -v[54:55]
	v_mul_f64 v[24:25], v[2:3], s[24:25]
	v_mul_f64 v[131:132], v[20:21], s[34:35]
	v_add_f64 v[26:27], v[76:77], v[62:63]
	v_mul_f64 v[153:154], v[32:33], s[18:19]
	v_mul_f64 v[168:169], v[2:3], s[18:19]
	;; [unrolled: 1-line block ×3, first 2 shown]
	v_add_f64 v[12:13], v[42:43], -v[44:45]
	v_add_f64 v[16:17], v[52:53], v[56:57]
	v_fma_f64 v[136:137], v[22:23], s[22:23], v[24:25]
	v_fma_f64 v[24:25], v[22:23], s[22:23], -v[24:25]
	v_fma_f64 v[160:161], v[34:35], s[4:5], v[131:132]
	v_fma_f64 v[131:132], v[34:35], s[4:5], -v[131:132]
	v_fma_f64 v[170:171], v[30:31], s[16:17], v[153:154]
	v_mul_f64 v[138:139], v[18:19], s[14:15]
	v_mul_f64 v[166:167], v[20:21], s[28:29]
	v_fma_f64 v[153:154], v[30:31], s[16:17], -v[153:154]
	v_add_f64 v[136:137], v[4:5], v[136:137]
	v_add_f64 v[24:25], v[4:5], v[24:25]
	v_mul_f64 v[172:173], v[2:3], s[14:15]
	v_fma_f64 v[174:175], v[26:27], s[2:3], v[140:141]
	v_fma_f64 v[176:177], v[22:23], s[16:17], v[168:169]
	v_add_f64 v[6:7], v[46:47], v[48:49]
	v_mul_f64 v[134:135], v[12:13], s[28:29]
	v_mul_f64 v[164:165], v[32:33], s[20:21]
	v_add_f64 v[136:137], v[160:161], v[136:137]
	v_add_f64 v[24:25], v[131:132], v[24:25]
	v_mul_f64 v[160:161], v[20:21], s[36:37]
	v_fma_f64 v[140:141], v[26:27], s[2:3], -v[140:141]
	v_fma_f64 v[178:179], v[34:35], s[6:7], v[166:167]
	v_fma_f64 v[168:169], v[22:23], s[16:17], -v[168:169]
	v_add_f64 v[176:177], v[4:5], v[176:177]
	v_mul_f64 v[162:163], v[28:29], s[40:41]
	v_add_f64 v[136:137], v[170:171], v[136:137]
	v_add_f64 v[24:25], v[153:154], v[24:25]
	v_fma_f64 v[170:171], v[16:17], s[10:11], v[138:139]
	v_mul_f64 v[131:132], v[32:33], s[34:35]
	v_fma_f64 v[153:154], v[6:7], s[6:7], v[134:135]
	v_fma_f64 v[138:139], v[16:17], s[10:11], -v[138:139]
	v_fma_f64 v[166:167], v[34:35], s[6:7], -v[166:167]
	v_add_f64 v[168:169], v[4:5], v[168:169]
	v_add_f64 v[136:137], v[174:175], v[136:137]
	v_fma_f64 v[174:175], v[22:23], s[10:11], v[172:173]
	v_add_f64 v[24:25], v[140:141], v[24:25]
	v_fma_f64 v[140:141], v[30:31], s[2:3], v[164:165]
	v_add_f64 v[176:177], v[178:179], v[176:177]
	v_mul_f64 v[155:156], v[18:19], s[34:35]
	v_fma_f64 v[164:165], v[30:31], s[2:3], -v[164:165]
	v_add_f64 v[166:167], v[166:167], v[168:169]
	v_add_f64 v[136:137], v[170:171], v[136:137]
	v_fma_f64 v[170:171], v[34:35], s[16:17], v[160:161]
	v_add_f64 v[174:175], v[4:5], v[174:175]
	v_add_f64 v[24:25], v[138:139], v[24:25]
	v_fma_f64 v[138:139], v[26:27], s[22:23], v[162:163]
	v_add_f64 v[140:141], v[140:141], v[176:177]
	v_fma_f64 v[168:169], v[30:31], s[4:5], v[131:132]
	v_fma_f64 v[134:135], v[6:7], s[6:7], -v[134:135]
	v_add_f64 v[136:137], v[153:154], v[136:137]
	v_mul_f64 v[153:154], v[28:29], s[26:27]
	v_add_f64 v[170:171], v[170:171], v[174:175]
	v_fma_f64 v[162:163], v[26:27], s[22:23], -v[162:163]
	v_add_f64 v[164:165], v[164:165], v[166:167]
	v_fma_f64 v[166:167], v[16:17], s[4:5], v[155:156]
	v_add_f64 v[138:139], v[138:139], v[140:141]
	v_mul_f64 v[140:141], v[18:19], s[40:41]
	v_add_f64 v[24:25], v[134:135], v[24:25]
	v_fma_f64 v[176:177], v[26:27], s[6:7], v[153:154]
	v_add_f64 v[168:169], v[168:169], v[170:171]
	v_mul_f64 v[134:135], v[12:13], s[14:15]
	v_fma_f64 v[155:156], v[16:17], s[4:5], -v[155:156]
	v_add_f64 v[162:163], v[162:163], v[164:165]
	v_mul_f64 v[164:165], v[12:13], s[38:39]
	v_add_f64 v[138:139], v[166:167], v[138:139]
	v_fma_f64 v[166:167], v[16:17], s[22:23], v[140:141]
	v_mul_f64 v[170:171], v[2:3], s[26:27]
	v_fma_f64 v[172:173], v[22:23], s[10:11], -v[172:173]
	v_add_f64 v[168:169], v[176:177], v[168:169]
	v_fma_f64 v[174:175], v[6:7], s[10:11], v[134:135]
	v_add_f64 v[155:156], v[155:156], v[162:163]
	v_fma_f64 v[162:163], v[6:7], s[2:3], v[164:165]
	v_fma_f64 v[160:161], v[34:35], s[16:17], -v[160:161]
	v_mul_f64 v[176:177], v[20:21], s[24:25]
	v_fma_f64 v[178:179], v[22:23], s[6:7], v[170:171]
	v_add_f64 v[172:173], v[4:5], v[172:173]
	v_add_f64 v[166:167], v[166:167], v[168:169]
	v_fma_f64 v[134:135], v[6:7], s[10:11], -v[134:135]
	v_add_f64 v[138:139], v[174:175], v[138:139]
	v_fma_f64 v[131:132], v[30:31], s[4:5], -v[131:132]
	v_fma_f64 v[153:154], v[26:27], s[6:7], -v[153:154]
	v_fma_f64 v[168:169], v[34:35], s[22:23], v[176:177]
	v_add_f64 v[174:175], v[4:5], v[178:179]
	v_add_f64 v[160:161], v[160:161], v[172:173]
	;; [unrolled: 1-line block ×3, first 2 shown]
	v_fma_f64 v[166:167], v[22:23], s[6:7], -v[170:171]
	v_add_f64 v[134:135], v[134:135], v[155:156]
	v_mul_f64 v[155:156], v[32:33], s[42:43]
	v_mul_f64 v[170:171], v[28:29], s[34:35]
	v_fma_f64 v[140:141], v[16:17], s[22:23], -v[140:141]
	v_add_f64 v[168:169], v[168:169], v[174:175]
	v_add_f64 v[131:132], v[131:132], v[160:161]
	v_fma_f64 v[160:161], v[34:35], s[22:23], -v[176:177]
	v_add_f64 v[166:167], v[4:5], v[166:167]
	v_add_f64 v[174:175], v[4:5], v[86:87]
	v_fma_f64 v[172:173], v[30:31], s[10:11], v[155:156]
	v_mul_f64 v[176:177], v[18:19], s[20:21]
	v_fma_f64 v[178:179], v[26:27], s[4:5], v[170:171]
	v_mul_f64 v[184:185], v[28:29], s[36:37]
	v_add_f64 v[131:132], v[153:154], v[131:132]
	v_fma_f64 v[153:154], v[30:31], s[10:11], -v[155:156]
	v_add_f64 v[155:156], v[160:161], v[166:167]
	v_add_f64 v[166:167], v[174:175], v[82:83]
	;; [unrolled: 1-line block ×3, first 2 shown]
	v_mul_f64 v[174:175], v[2:3], s[20:21]
	v_fma_f64 v[172:173], v[16:17], s[2:3], v[176:177]
	v_mul_f64 v[2:3], v[2:3], s[30:31]
	v_add_f64 v[131:132], v[140:141], v[131:132]
	v_fma_f64 v[140:141], v[26:27], s[4:5], -v[170:171]
	v_add_f64 v[153:154], v[153:154], v[155:156]
	v_add_f64 v[166:167], v[166:167], v[80:81]
	;; [unrolled: 1-line block ×3, first 2 shown]
	v_mul_f64 v[170:171], v[20:21], s[14:15]
	v_fma_f64 v[178:179], v[22:23], s[2:3], v[174:175]
	v_mul_f64 v[20:21], v[20:21], s[20:21]
	v_fma_f64 v[190:191], v[22:23], s[4:5], -v[2:3]
	v_fma_f64 v[174:175], v[22:23], s[2:3], -v[174:175]
	v_add_f64 v[140:141], v[140:141], v[153:154]
	v_add_f64 v[166:167], v[166:167], v[76:77]
	;; [unrolled: 1-line block ×3, first 2 shown]
	v_fma_f64 v[172:173], v[16:17], s[2:3], -v[176:177]
	v_mul_f64 v[153:154], v[32:33], s[24:25]
	v_fma_f64 v[176:177], v[34:35], s[10:11], v[170:171]
	v_add_f64 v[178:179], v[4:5], v[178:179]
	v_fma_f64 v[2:3], v[22:23], s[4:5], v[2:3]
	v_mul_f64 v[22:23], v[32:33], s[26:27]
	v_add_f64 v[166:167], v[166:167], v[52:53]
	v_fma_f64 v[32:33], v[34:35], s[2:3], -v[20:21]
	v_add_f64 v[140:141], v[172:173], v[140:141]
	v_fma_f64 v[172:173], v[30:31], s[22:23], v[153:154]
	v_fma_f64 v[170:171], v[34:35], s[10:11], -v[170:171]
	v_add_f64 v[176:177], v[176:177], v[178:179]
	v_add_f64 v[174:175], v[4:5], v[174:175]
	v_fma_f64 v[20:21], v[34:35], s[2:3], v[20:21]
	v_add_f64 v[166:167], v[166:167], v[46:47]
	v_add_f64 v[2:3], v[4:5], v[2:3]
	v_fma_f64 v[153:154], v[30:31], s[22:23], -v[153:154]
	v_mul_f64 v[182:183], v[18:19], s[28:29]
	v_mul_f64 v[18:19], v[18:19], s[18:19]
	v_add_f64 v[172:173], v[172:173], v[176:177]
	v_add_f64 v[176:177], v[4:5], v[190:191]
	v_mul_f64 v[4:5], v[28:29], s[14:15]
	v_add_f64 v[166:167], v[166:167], v[48:49]
	v_fma_f64 v[28:29], v[30:31], s[6:7], -v[22:23]
	v_fma_f64 v[22:23], v[30:31], s[6:7], v[22:23]
	v_add_f64 v[2:3], v[20:21], v[2:3]
	v_fma_f64 v[188:189], v[26:27], s[16:17], v[184:185]
	v_mul_f64 v[160:161], v[12:13], s[18:19]
	v_add_f64 v[32:33], v[32:33], v[176:177]
	v_fma_f64 v[20:21], v[26:27], s[10:11], -v[4:5]
	v_add_f64 v[34:35], v[166:167], v[56:57]
	v_add_f64 v[166:167], v[170:171], v[174:175]
	v_fma_f64 v[170:171], v[26:27], s[16:17], -v[184:185]
	v_fma_f64 v[4:5], v[26:27], s[10:11], v[4:5]
	v_add_f64 v[2:3], v[22:23], v[2:3]
	v_mul_f64 v[180:181], v[12:13], s[34:35]
	v_add_f64 v[28:29], v[28:29], v[32:33]
	v_mul_f64 v[12:13], v[12:13], s[24:25]
	v_add_f64 v[30:31], v[34:35], v[62:63]
	v_add_f64 v[32:33], v[153:154], v[166:167]
	v_fma_f64 v[22:23], v[16:17], s[16:17], -v[18:19]
	v_fma_f64 v[34:35], v[16:17], s[6:7], -v[182:183]
	v_fma_f64 v[186:187], v[16:17], s[6:7], v[182:183]
	v_fma_f64 v[16:17], v[16:17], s[16:17], v[18:19]
	v_add_f64 v[20:21], v[20:21], v[28:29]
	v_add_f64 v[2:3], v[4:5], v[2:3]
	;; [unrolled: 1-line block ×5, first 2 shown]
	v_fma_f64 v[18:19], v[6:7], s[22:23], -v[12:13]
	v_fma_f64 v[155:156], v[6:7], s[16:17], v[160:161]
	v_fma_f64 v[160:161], v[6:7], s[16:17], -v[160:161]
	v_add_f64 v[20:21], v[22:23], v[20:21]
	v_fma_f64 v[4:5], v[6:7], s[4:5], -v[180:181]
	v_add_f64 v[22:23], v[26:27], v[72:73]
	v_add_f64 v[26:27], v[34:35], v[28:29]
	v_fma_f64 v[164:165], v[6:7], s[2:3], -v[164:165]
	v_fma_f64 v[178:179], v[6:7], s[4:5], v[180:181]
	v_add_f64 v[28:29], v[186:187], v[30:31]
	v_fma_f64 v[6:7], v[6:7], s[22:23], v[12:13]
	v_add_f64 v[2:3], v[16:17], v[2:3]
	v_add_f64 v[18:19], v[18:19], v[20:21]
	;; [unrolled: 1-line block ×9, first 2 shown]
	v_mul_u32_u24_e32 v6, 52, v129
	v_or_b32_e32 v6, v6, v133
	v_lshl_add_u32 v6, v6, 3, 0
	ds_write2_b64 v6, v[20:21], v[18:19] offset1:4
	ds_write2_b64 v6, v[4:5], v[16:17] offset0:8 offset1:12
	ds_write2_b64 v6, v[12:13], v[134:135] offset0:16 offset1:20
	;; [unrolled: 1-line block ×5, first 2 shown]
	ds_write_b64 v6, v[2:3] offset:384
.LBB0_31:
	s_or_b64 exec, exec, s[44:45]
	v_add_f64 v[2:3], v[8:9], v[125:126]
	v_add_f64 v[4:5], v[123:124], -v[127:128]
	v_add_f64 v[6:7], v[125:126], v[36:37]
	v_add_f64 v[16:17], v[119:120], -v[121:122]
	;; [unrolled: 2-line block ×3, first 2 shown]
	v_add_f64 v[18:19], v[111:112], v[109:110]
	s_waitcnt lgkmcnt(0)
	v_add_f64 v[2:3], v[2:3], v[113:114]
	v_mul_f64 v[22:23], v[4:5], s[30:31]
	v_mul_f64 v[24:25], v[4:5], s[20:21]
	;; [unrolled: 1-line block ×7, first 2 shown]
	v_add_f64 v[2:3], v[2:3], v[111:112]
	v_mul_f64 v[34:35], v[16:17], s[14:15]
	v_fma_f64 v[125:126], v[6:7], s[4:5], v[22:23]
	v_fma_f64 v[22:23], v[6:7], s[4:5], -v[22:23]
	v_fma_f64 v[127:128], v[6:7], s[2:3], v[24:25]
	v_fma_f64 v[24:25], v[6:7], s[2:3], -v[24:25]
	v_mul_f64 v[111:112], v[16:17], s[24:25]
	v_mul_f64 v[113:114], v[16:17], s[36:37]
	v_add_f64 v[2:3], v[2:3], v[100:101]
	v_mul_f64 v[115:116], v[16:17], s[28:29]
	v_mul_f64 v[16:17], v[16:17], s[34:35]
	;; [unrolled: 1-line block ×4, first 2 shown]
	v_fma_f64 v[131:132], v[6:7], s[6:7], v[26:27]
	v_fma_f64 v[26:27], v[6:7], s[6:7], -v[26:27]
	v_fma_f64 v[134:135], v[6:7], s[10:11], v[28:29]
	v_add_f64 v[2:3], v[2:3], v[94:95]
	v_fma_f64 v[28:29], v[6:7], s[10:11], -v[28:29]
	v_fma_f64 v[136:137], v[6:7], s[16:17], v[30:31]
	v_fma_f64 v[30:31], v[6:7], s[16:17], -v[30:31]
	v_fma_f64 v[138:139], v[6:7], s[22:23], v[4:5]
	v_fma_f64 v[4:5], v[6:7], s[22:23], -v[4:5]
	v_fma_f64 v[6:7], v[12:13], s[2:3], v[32:33]
	v_fma_f64 v[32:33], v[12:13], s[2:3], -v[32:33]
	v_add_f64 v[2:3], v[2:3], v[10:11]
	v_fma_f64 v[140:141], v[12:13], s[10:11], v[34:35]
	v_fma_f64 v[34:35], v[12:13], s[10:11], -v[34:35]
	v_add_f64 v[125:126], v[8:9], v[125:126]
	v_add_f64 v[22:23], v[8:9], v[22:23]
	;; [unrolled: 1-line block ×4, first 2 shown]
	v_mul_f64 v[121:122], v[20:21], s[42:43]
	v_add_f64 v[2:3], v[2:3], v[14:15]
	v_mul_f64 v[123:124], v[20:21], s[34:35]
	v_fma_f64 v[153:154], v[12:13], s[22:23], v[111:112]
	v_fma_f64 v[111:112], v[12:13], s[22:23], -v[111:112]
	v_fma_f64 v[155:156], v[12:13], s[16:17], v[113:114]
	v_fma_f64 v[113:114], v[12:13], s[16:17], -v[113:114]
	;; [unrolled: 2-line block ×3, first 2 shown]
	v_add_f64 v[2:3], v[2:3], v[40:41]
	v_fma_f64 v[162:163], v[12:13], s[4:5], v[16:17]
	v_fma_f64 v[12:13], v[12:13], s[4:5], -v[16:17]
	v_fma_f64 v[16:17], v[18:19], s[6:7], v[117:118]
	v_fma_f64 v[164:165], v[18:19], s[22:23], v[119:120]
	v_fma_f64 v[119:120], v[18:19], s[22:23], -v[119:120]
	v_add_f64 v[131:132], v[8:9], v[131:132]
	v_add_f64 v[26:27], v[8:9], v[26:27]
	;; [unrolled: 1-line block ×21, first 2 shown]
	v_mul_f64 v[16:17], v[20:21], s[20:21]
	v_add_f64 v[22:23], v[119:120], v[24:25]
	v_add_f64 v[24:25], v[102:103], -v[107:108]
	v_fma_f64 v[102:103], v[18:19], s[4:5], -v[123:124]
	v_mul_f64 v[20:21], v[20:21], s[18:19]
	v_add_f64 v[111:112], v[2:3], v[36:37]
	v_fma_f64 v[2:3], v[18:19], s[10:11], -v[121:122]
	v_fma_f64 v[36:37], v[18:19], s[4:5], v[123:124]
	v_fma_f64 v[117:118], v[18:19], s[6:7], -v[117:118]
	v_fma_f64 v[166:167], v[18:19], s[10:11], v[121:122]
	v_add_f64 v[38:39], v[160:161], v[136:137]
	v_add_f64 v[30:31], v[115:116], v[30:31]
	v_add_f64 v[100:101], v[100:101], v[105:106]
	v_mul_f64 v[105:106], v[24:25], s[14:15]
	v_add_f64 v[2:3], v[2:3], v[26:27]
	v_fma_f64 v[26:27], v[18:19], s[2:3], v[16:17]
	v_fma_f64 v[16:17], v[18:19], s[2:3], -v[16:17]
	v_add_f64 v[34:35], v[36:37], v[34:35]
	v_add_f64 v[28:29], v[102:103], v[28:29]
	v_mul_f64 v[36:37], v[24:25], s[36:37]
	v_fma_f64 v[102:103], v[18:19], s[16:17], v[20:21]
	v_fma_f64 v[18:19], v[18:19], s[16:17], -v[20:21]
	v_add_f64 v[32:33], v[153:154], v[131:132]
	v_add_f64 v[8:9], v[117:118], v[8:9]
	;; [unrolled: 1-line block ×3, first 2 shown]
	v_fma_f64 v[26:27], v[100:101], s[10:11], v[105:106]
	v_add_f64 v[16:17], v[16:17], v[30:31]
	v_mul_f64 v[30:31], v[24:25], s[34:35]
	v_fma_f64 v[38:39], v[100:101], s[10:11], -v[105:106]
	v_add_f64 v[4:5], v[18:19], v[4:5]
	v_fma_f64 v[18:19], v[100:101], s[16:17], -v[36:37]
	v_add_f64 v[32:33], v[166:167], v[32:33]
	v_fma_f64 v[105:106], v[100:101], s[16:17], v[36:37]
	v_add_f64 v[6:7], v[26:27], v[6:7]
	v_mul_f64 v[26:27], v[24:25], s[26:27]
	v_fma_f64 v[36:37], v[100:101], s[4:5], v[30:31]
	v_add_f64 v[8:9], v[38:39], v[8:9]
	v_fma_f64 v[30:31], v[100:101], s[4:5], -v[30:31]
	v_mul_f64 v[38:39], v[24:25], s[40:41]
	v_add_f64 v[18:19], v[18:19], v[22:23]
	v_add_f64 v[22:23], v[96:97], -v[98:99]
	v_mul_f64 v[24:25], v[24:25], s[38:39]
	v_fma_f64 v[96:97], v[100:101], s[6:7], v[26:27]
	v_add_f64 v[32:33], v[36:37], v[32:33]
	v_fma_f64 v[26:27], v[100:101], s[6:7], -v[26:27]
	v_add_f64 v[2:3], v[30:31], v[2:3]
	v_fma_f64 v[30:31], v[100:101], s[22:23], v[38:39]
	v_add_f64 v[36:37], v[94:95], v[40:41]
	v_mul_f64 v[40:41], v[22:23], s[18:19]
	v_fma_f64 v[38:39], v[100:101], s[22:23], -v[38:39]
	v_add_f64 v[34:35], v[96:97], v[34:35]
	v_mul_f64 v[94:95], v[22:23], s[28:29]
	v_add_f64 v[26:27], v[26:27], v[28:29]
	v_fma_f64 v[28:29], v[100:101], s[2:3], v[24:25]
	v_fma_f64 v[24:25], v[100:101], s[2:3], -v[24:25]
	v_add_f64 v[20:21], v[30:31], v[20:21]
	v_fma_f64 v[30:31], v[36:37], s[16:17], v[40:41]
	v_mul_f64 v[96:97], v[22:23], s[20:21]
	v_add_f64 v[109:110], v[162:163], v[138:139]
	v_add_f64 v[12:13], v[105:106], v[12:13]
	;; [unrolled: 1-line block ×3, first 2 shown]
	v_fma_f64 v[38:39], v[36:37], s[16:17], -v[40:41]
	v_fma_f64 v[40:41], v[36:37], s[6:7], v[94:95]
	v_add_f64 v[4:5], v[24:25], v[4:5]
	v_fma_f64 v[24:25], v[36:37], s[6:7], -v[94:95]
	v_add_f64 v[6:7], v[30:31], v[6:7]
	v_fma_f64 v[30:31], v[36:37], s[2:3], v[96:97]
	v_mul_f64 v[94:95], v[22:23], s[40:41]
	v_add_f64 v[102:103], v[102:103], v[109:110]
	v_add_f64 v[8:9], v[38:39], v[8:9]
	;; [unrolled: 1-line block ×3, first 2 shown]
	v_mul_f64 v[40:41], v[22:23], s[34:35]
	v_add_f64 v[18:19], v[24:25], v[18:19]
	v_add_f64 v[24:25], v[90:91], -v[92:93]
	v_add_f64 v[30:31], v[30:31], v[32:33]
	v_fma_f64 v[32:33], v[36:37], s[22:23], v[94:95]
	v_mul_f64 v[22:23], v[22:23], s[14:15]
	v_add_f64 v[28:29], v[28:29], v[102:103]
	v_fma_f64 v[38:39], v[36:37], s[2:3], -v[96:97]
	v_add_f64 v[10:11], v[10:11], v[14:15]
	v_fma_f64 v[90:91], v[36:37], s[4:5], v[40:41]
	v_mul_f64 v[14:15], v[24:25], s[24:25]
	v_mul_f64 v[92:93], v[24:25], s[34:35]
	v_add_f64 v[32:33], v[32:33], v[34:35]
	v_fma_f64 v[34:35], v[36:37], s[10:11], v[22:23]
	v_fma_f64 v[40:41], v[36:37], s[4:5], -v[40:41]
	v_add_f64 v[2:3], v[38:39], v[2:3]
	v_fma_f64 v[38:39], v[36:37], s[22:23], -v[94:95]
	v_fma_f64 v[22:23], v[36:37], s[10:11], -v[22:23]
	v_fma_f64 v[36:37], v[10:11], s[22:23], v[14:15]
	v_fma_f64 v[14:15], v[10:11], s[22:23], -v[14:15]
	v_add_f64 v[20:21], v[90:91], v[20:21]
	v_add_f64 v[28:29], v[34:35], v[28:29]
	v_fma_f64 v[34:35], v[10:11], s[4:5], v[92:93]
	v_add_f64 v[16:17], v[40:41], v[16:17]
	v_add_f64 v[26:27], v[38:39], v[26:27]
	;; [unrolled: 1-line block ×3, first 2 shown]
	v_fma_f64 v[22:23], v[10:11], s[4:5], -v[92:93]
	v_mul_f64 v[38:39], v[24:25], s[18:19]
	v_add_f64 v[97:98], v[36:37], v[6:7]
	v_mul_f64 v[6:7], v[24:25], s[38:39]
	v_add_f64 v[99:100], v[14:15], v[8:9]
	;; [unrolled: 2-line block ×4, first 2 shown]
	v_fma_f64 v[14:15], v[10:11], s[16:17], v[38:39]
	v_fma_f64 v[18:19], v[10:11], s[16:17], -v[38:39]
	v_fma_f64 v[22:23], v[10:11], s[2:3], v[6:7]
	v_fma_f64 v[6:7], v[10:11], s[2:3], -v[6:7]
	;; [unrolled: 2-line block ×4, first 2 shown]
	v_add_u32_e32 v92, 0x800, v143
	v_add_u32_e32 v93, 0x1000, v143
	;; [unrolled: 1-line block ×5, first 2 shown]
	v_add_f64 v[107:108], v[14:15], v[30:31]
	v_add_f64 v[109:110], v[18:19], v[2:3]
	;; [unrolled: 1-line block ×8, first 2 shown]
	; wave barrier
	ds_read2_b64 v[6:9], v143 offset1:52
	ds_read2_b64 v[2:5], v143 offset0:104 offset1:156
	ds_read2_b64 v[38:41], v92 offset0:56 offset1:108
	;; [unrolled: 1-line block ×9, first 2 shown]
	ds_read_b64 v[90:91], v143 offset:8320
	s_waitcnt lgkmcnt(0)
	; wave barrier
	s_waitcnt lgkmcnt(0)
	ds_write2_b64 v130, v[111:112], v[97:98] offset1:4
	ds_write2_b64 v130, v[101:102], v[107:108] offset0:8 offset1:12
	ds_write2_b64 v130, v[113:114], v[117:118] offset0:16 offset1:20
	;; [unrolled: 1-line block ×5, first 2 shown]
	ds_write_b64 v130, v[99:100] offset:384
	s_and_saveexec_b64 s[2:3], vcc
	s_cbranch_execz .LBB0_33
; %bb.32:
	v_add_f64 v[97:98], v[0:1], v[88:89]
	v_add_f64 v[74:75], v[86:87], -v[74:75]
	v_add_f64 v[72:73], v[82:83], -v[72:73]
	s_mov_b32 s24, 0x42a4c3d2
	s_mov_b32 s25, 0xbfea55e2
	v_add_f64 v[88:89], v[88:89], v[68:69]
	s_mov_b32 s4, 0x1ea71119
	s_mov_b32 s34, 0x66966769
	v_add_f64 v[86:87], v[97:98], v[84:85]
	v_mul_f64 v[97:98], v[74:75], s[24:25]
	s_mov_b32 s18, 0x2ef20147
	s_mov_b32 s5, 0x3fe22d96
	;; [unrolled: 1-line block ×4, first 2 shown]
	v_add_f64 v[84:85], v[84:85], v[70:71]
	v_mul_f64 v[99:100], v[74:75], s[34:35]
	v_add_f64 v[86:87], v[86:87], v[78:79]
	v_mul_f64 v[101:102], v[74:75], s[18:19]
	v_mul_f64 v[109:110], v[72:73], s[18:19]
	v_fma_f64 v[119:120], v[88:89], s[4:5], v[97:98]
	v_fma_f64 v[97:98], v[88:89], s[4:5], -v[97:98]
	s_mov_b32 s10, 0xebaa3ed8
	s_mov_b32 s16, 0xb2365da1
	;; [unrolled: 1-line block ×3, first 2 shown]
	v_add_f64 v[86:87], v[86:87], v[58:59]
	s_mov_b32 s28, 0x4bc48dbf
	s_mov_b32 s15, 0xbfddbe06
	;; [unrolled: 1-line block ×7, first 2 shown]
	v_add_f64 v[82:83], v[86:87], v[50:51]
	s_mov_b32 s36, s22
	v_mul_f64 v[86:87], v[74:75], s[14:15]
	v_mul_f64 v[105:106], v[74:75], s[22:23]
	;; [unrolled: 1-line block ×5, first 2 shown]
	v_fma_f64 v[121:122], v[88:89], s[10:11], v[99:100]
	v_add_f64 v[82:83], v[82:83], v[42:43]
	v_fma_f64 v[99:100], v[88:89], s[10:11], -v[99:100]
	v_fma_f64 v[123:124], v[88:89], s[16:17], v[101:102]
	v_fma_f64 v[101:102], v[88:89], s[16:17], -v[101:102]
	v_fma_f64 v[130:131], v[84:85], s[16:17], v[109:110]
	v_fma_f64 v[109:110], v[84:85], s[16:17], -v[109:110]
	v_add_f64 v[97:98], v[0:1], v[97:98]
	s_mov_b32 s6, 0xe00740e9
	v_add_f64 v[82:83], v[82:83], v[44:45]
	s_mov_b32 s20, 0xd0032e0c
	s_mov_b32 s26, 0x93053d00
	;; [unrolled: 1-line block ×7, first 2 shown]
	v_add_f64 v[82:83], v[82:83], v[54:55]
	s_mov_b32 s15, 0x3fddbe06
	v_mul_f64 v[107:108], v[72:73], s[24:25]
	v_mul_f64 v[115:116], v[72:73], s[30:31]
	v_fma_f64 v[117:118], v[88:89], s[6:7], v[86:87]
	v_fma_f64 v[86:87], v[88:89], s[6:7], -v[86:87]
	v_fma_f64 v[125:126], v[88:89], s[20:21], v[105:106]
	v_fma_f64 v[105:106], v[88:89], s[20:21], -v[105:106]
	v_add_f64 v[82:83], v[82:83], v[60:61]
	v_fma_f64 v[127:128], v[88:89], s[26:27], v[74:75]
	v_fma_f64 v[74:75], v[88:89], s[26:27], -v[74:75]
	v_add_f64 v[99:100], v[0:1], v[99:100]
	v_add_f64 v[101:102], v[0:1], v[101:102]
	;; [unrolled: 1-line block ×3, first 2 shown]
	v_add_f64 v[66:67], v[80:81], -v[66:67]
	v_fma_f64 v[109:110], v[84:85], s[20:21], -v[113:114]
	v_add_f64 v[82:83], v[82:83], v[64:65]
	v_mul_f64 v[72:73], v[72:73], s[14:15]
	v_fma_f64 v[88:89], v[84:85], s[4:5], v[107:108]
	v_fma_f64 v[107:108], v[84:85], s[4:5], -v[107:108]
	v_add_f64 v[117:118], v[0:1], v[117:118]
	v_add_f64 v[86:87], v[0:1], v[86:87]
	;; [unrolled: 1-line block ×10, first 2 shown]
	v_fma_f64 v[80:81], v[84:85], s[20:21], v[113:114]
	v_fma_f64 v[113:114], v[84:85], s[10:11], -v[115:116]
	v_add_f64 v[68:69], v[70:71], v[68:69]
	v_fma_f64 v[70:71], v[84:85], s[26:27], -v[111:112]
	v_add_f64 v[64:65], v[78:79], v[64:65]
	v_mul_f64 v[78:79], v[66:67], s[34:35]
	s_mov_b32 s39, 0x3fedeba7
	s_mov_b32 s38, s18
	v_fma_f64 v[134:135], v[84:85], s[26:27], v[111:112]
	v_add_f64 v[74:75], v[88:89], v[117:118]
	v_add_f64 v[86:87], v[107:108], v[86:87]
	;; [unrolled: 1-line block ×4, first 2 shown]
	v_fma_f64 v[109:110], v[84:85], s[6:7], v[72:73]
	v_fma_f64 v[72:73], v[84:85], s[6:7], -v[72:73]
	v_fma_f64 v[111:112], v[84:85], s[10:11], v[115:116]
	v_add_f64 v[105:106], v[113:114], v[105:106]
	v_fma_f64 v[84:85], v[64:65], s[10:11], v[78:79]
	v_fma_f64 v[78:79], v[64:65], s[10:11], -v[78:79]
	v_mul_f64 v[113:114], v[66:67], s[38:39]
	v_add_f64 v[62:63], v[76:77], -v[62:63]
	v_add_f64 v[107:108], v[134:135], v[121:122]
	v_add_f64 v[0:1], v[72:73], v[0:1]
	v_mul_f64 v[72:73], v[66:67], s[14:15]
	v_add_f64 v[101:102], v[111:112], v[125:126]
	v_mul_f64 v[111:112], v[66:67], s[28:29]
	v_add_f64 v[74:75], v[84:85], v[74:75]
	v_add_f64 v[78:79], v[78:79], v[86:87]
	v_fma_f64 v[84:85], v[64:65], s[16:17], v[113:114]
	v_fma_f64 v[86:87], v[64:65], s[16:17], -v[113:114]
	v_mul_f64 v[113:114], v[66:67], s[24:25]
	v_fma_f64 v[115:116], v[64:65], s[6:7], v[72:73]
	v_fma_f64 v[72:73], v[64:65], s[6:7], -v[72:73]
	v_mul_f64 v[66:67], v[66:67], s[22:23]
	v_add_f64 v[58:59], v[58:59], v[60:61]
	v_mul_f64 v[60:61], v[62:63], s[18:19]
	v_add_f64 v[88:89], v[130:131], v[119:120]
	v_add_f64 v[82:83], v[109:110], v[82:83]
	v_fma_f64 v[109:110], v[64:65], s[26:27], v[111:112]
	v_fma_f64 v[111:112], v[64:65], s[26:27], -v[111:112]
	v_add_f64 v[76:77], v[84:85], v[107:108]
	v_add_f64 v[70:71], v[86:87], v[70:71]
	v_fma_f64 v[84:85], v[64:65], s[4:5], v[113:114]
	v_add_f64 v[72:73], v[72:73], v[99:100]
	v_fma_f64 v[86:87], v[64:65], s[4:5], -v[113:114]
	v_mul_f64 v[99:100], v[62:63], s[36:37]
	v_fma_f64 v[107:108], v[64:65], s[20:21], v[66:67]
	v_fma_f64 v[64:65], v[64:65], s[20:21], -v[66:67]
	v_fma_f64 v[66:67], v[58:59], s[16:17], v[60:61]
	v_add_f64 v[88:89], v[109:110], v[88:89]
	v_add_f64 v[97:98], v[111:112], v[97:98]
	;; [unrolled: 1-line block ×3, first 2 shown]
	v_mul_f64 v[101:102], v[62:63], s[14:15]
	v_fma_f64 v[60:61], v[58:59], s[16:17], -v[60:61]
	v_add_f64 v[86:87], v[86:87], v[105:106]
	v_fma_f64 v[105:106], v[58:59], s[20:21], v[99:100]
	v_fma_f64 v[99:100], v[58:59], s[20:21], -v[99:100]
	v_add_f64 v[0:1], v[64:65], v[0:1]
	v_add_f64 v[64:65], v[66:67], v[74:75]
	v_mul_f64 v[66:67], v[62:63], s[34:35]
	s_mov_b32 s35, 0x3fcea1e5
	s_mov_b32 s34, s28
	v_add_f64 v[60:61], v[60:61], v[78:79]
	v_add_f64 v[74:75], v[105:106], v[88:89]
	;; [unrolled: 1-line block ×3, first 2 shown]
	v_fma_f64 v[88:89], v[58:59], s[6:7], -v[101:102]
	v_mul_f64 v[97:98], v[62:63], s[34:35]
	v_add_f64 v[52:53], v[52:53], -v[56:57]
	s_mov_b32 s37, 0x3fea55e2
	s_mov_b32 s36, s24
	v_fma_f64 v[99:100], v[58:59], s[10:11], v[66:67]
	v_fma_f64 v[56:57], v[58:59], s[10:11], -v[66:67]
	v_mul_f64 v[62:63], v[62:63], s[36:37]
	v_add_f64 v[66:67], v[88:89], v[70:71]
	v_fma_f64 v[70:71], v[58:59], s[26:27], v[97:98]
	v_add_f64 v[50:51], v[50:51], v[54:55]
	v_mul_f64 v[54:55], v[52:53], s[22:23]
	v_add_f64 v[80:81], v[80:81], v[123:124]
	v_fma_f64 v[109:110], v[58:59], s[6:7], v[101:102]
	v_add_f64 v[82:83], v[107:108], v[82:83]
	v_fma_f64 v[88:89], v[58:59], s[26:27], -v[97:98]
	v_add_f64 v[56:57], v[56:57], v[72:73]
	v_fma_f64 v[72:73], v[58:59], s[4:5], v[62:63]
	v_mul_f64 v[97:98], v[52:53], s[30:31]
	v_fma_f64 v[58:59], v[58:59], s[4:5], -v[62:63]
	v_add_f64 v[62:63], v[70:71], v[84:85]
	v_fma_f64 v[70:71], v[50:51], s[20:21], v[54:55]
	v_mul_f64 v[84:85], v[52:53], s[24:25]
	v_fma_f64 v[54:55], v[50:51], s[20:21], -v[54:55]
	v_add_f64 v[80:81], v[115:116], v[80:81]
	v_add_f64 v[76:77], v[109:110], v[76:77]
	;; [unrolled: 1-line block ×4, first 2 shown]
	v_fma_f64 v[82:83], v[50:51], s[10:11], v[97:98]
	v_add_f64 v[64:65], v[70:71], v[64:65]
	v_fma_f64 v[70:71], v[50:51], s[4:5], v[84:85]
	v_mul_f64 v[88:89], v[52:53], s[34:35]
	v_add_f64 v[54:55], v[54:55], v[60:61]
	v_fma_f64 v[60:61], v[50:51], s[4:5], -v[84:85]
	v_add_f64 v[46:47], v[46:47], -v[48:49]
	v_add_f64 v[80:81], v[99:100], v[80:81]
	v_add_f64 v[0:1], v[58:59], v[0:1]
	v_fma_f64 v[58:59], v[50:51], s[10:11], -v[97:98]
	v_add_f64 v[74:75], v[82:83], v[74:75]
	v_mul_f64 v[82:83], v[52:53], s[14:15]
	v_add_f64 v[48:49], v[70:71], v[76:77]
	v_fma_f64 v[70:71], v[50:51], s[26:27], v[88:89]
	v_mul_f64 v[52:53], v[52:53], s[18:19]
	v_add_f64 v[60:61], v[60:61], v[66:67]
	v_fma_f64 v[66:67], v[50:51], s[26:27], -v[88:89]
	v_add_f64 v[42:43], v[42:43], v[44:45]
	v_mul_f64 v[44:45], v[46:47], s[28:29]
	v_add_f64 v[58:59], v[58:59], v[78:79]
	v_fma_f64 v[76:77], v[50:51], s[6:7], v[82:83]
	v_fma_f64 v[78:79], v[50:51], s[6:7], -v[82:83]
	v_add_f64 v[70:71], v[70:71], v[80:81]
	v_fma_f64 v[80:81], v[50:51], s[16:17], v[52:53]
	v_fma_f64 v[50:51], v[50:51], s[16:17], -v[52:53]
	v_mul_f64 v[52:53], v[46:47], s[14:15]
	v_add_f64 v[56:57], v[66:67], v[56:57]
	v_fma_f64 v[66:67], v[42:43], s[26:27], v[44:45]
	v_fma_f64 v[44:45], v[42:43], s[26:27], -v[44:45]
	v_add_f64 v[62:63], v[76:77], v[62:63]
	v_add_f64 v[76:77], v[78:79], v[86:87]
	v_mul_f64 v[78:79], v[46:47], s[22:23]
	v_add_f64 v[0:1], v[50:51], v[0:1]
	v_fma_f64 v[50:51], v[42:43], s[6:7], v[52:53]
	v_fma_f64 v[52:53], v[42:43], s[6:7], -v[52:53]
	v_add_f64 v[64:65], v[66:67], v[64:65]
	v_mul_f64 v[66:67], v[46:47], s[36:37]
	v_add_f64 v[44:45], v[44:45], v[54:55]
	v_mul_f64 v[54:55], v[46:47], s[18:19]
	v_mul_f64 v[46:47], v[46:47], s[30:31]
	v_add_f64 v[72:73], v[80:81], v[72:73]
	v_add_f64 v[50:51], v[50:51], v[74:75]
	;; [unrolled: 1-line block ×3, first 2 shown]
	v_fma_f64 v[58:59], v[42:43], s[20:21], v[78:79]
	v_fma_f64 v[74:75], v[42:43], s[20:21], -v[78:79]
	v_fma_f64 v[78:79], v[42:43], s[4:5], v[66:67]
	v_fma_f64 v[80:81], v[42:43], s[16:17], v[54:55]
	;; [unrolled: 1-line block ×3, first 2 shown]
	v_fma_f64 v[46:47], v[42:43], s[10:11], -v[46:47]
	v_fma_f64 v[66:67], v[42:43], s[4:5], -v[66:67]
	v_fma_f64 v[42:43], v[42:43], s[16:17], -v[54:55]
	v_add_f64 v[48:49], v[58:59], v[48:49]
	v_add_f64 v[54:55], v[74:75], v[60:61]
	;; [unrolled: 1-line block ×8, first 2 shown]
	v_mul_u32_u24_e32 v46, 52, v129
	v_or_b32_e32 v46, v46, v133
	v_lshl_add_u32 v46, v46, 3, 0
	ds_write2_b64 v46, v[68:69], v[64:65] offset1:4
	ds_write2_b64 v46, v[50:51], v[48:49] offset0:8 offset1:12
	ds_write2_b64 v46, v[58:59], v[60:61] offset0:16 offset1:20
	;; [unrolled: 1-line block ×5, first 2 shown]
	ds_write_b64 v46, v[44:45] offset:384
.LBB0_33:
	s_or_b64 exec, exec, s[2:3]
	v_mul_u32_u24_e32 v0, 6, v142
	v_lshlrev_b32_e32 v0, 4, v0
	s_waitcnt lgkmcnt(0)
	; wave barrier
	s_waitcnt lgkmcnt(0)
	global_load_dwordx4 v[42:45], v0, s[8:9] offset:800
	global_load_dwordx4 v[46:49], v0, s[8:9] offset:816
	;; [unrolled: 1-line block ×6, first 2 shown]
	s_movk_i32 s2, 0x4f
	v_mul_lo_u16_sdwa v0, v149, s2 dst_sel:DWORD dst_unused:UNUSED_PAD src0_sel:BYTE_0 src1_sel:DWORD
	v_lshrrev_b16_e32 v0, 12, v0
	v_mul_lo_u16_e32 v0, 52, v0
	v_sub_u16_e32 v0, v149, v0
	v_and_b32_e32 v103, 0xff, v0
	v_mul_u32_u24_e32 v0, 6, v103
	v_lshlrev_b32_e32 v0, 4, v0
	global_load_dwordx4 v[66:69], v0, s[8:9] offset:800
	global_load_dwordx4 v[70:73], v0, s[8:9] offset:816
	;; [unrolled: 1-line block ×6, first 2 shown]
	ds_read2_b64 v[97:100], v143 offset1:52
	ds_read2_b64 v[105:108], v143 offset0:104 offset1:156
	ds_read2_b64 v[109:112], v92 offset0:56 offset1:108
	ds_read2_b64 v[113:116], v92 offset0:160 offset1:212
	ds_read2_b64 v[117:120], v93 offset0:112 offset1:164
	ds_read2_b64 v[121:124], v96 offset0:88 offset1:140
	ds_read2_b64 v[125:128], v95 offset0:168 offset1:220
	ds_read2_b64 v[129:132], v94 offset0:80 offset1:132
	ds_read2_b64 v[133:136], v93 offset0:8 offset1:60
	ds_read2_b64 v[137:140], v95 offset0:64 offset1:116
	ds_read_b64 v[0:1], v143 offset:8320
	s_mov_b32 s4, 0x37e14327
	s_mov_b32 s2, 0x36b3c0b5
	;; [unrolled: 1-line block ×20, first 2 shown]
	s_waitcnt lgkmcnt(0)
	; wave barrier
	s_waitcnt vmcnt(11) lgkmcnt(0)
	v_mul_f64 v[101:102], v[107:108], v[44:45]
	v_mul_f64 v[153:154], v[4:5], v[44:45]
	s_waitcnt vmcnt(10)
	v_mul_f64 v[155:156], v[109:110], v[48:49]
	v_mul_f64 v[160:161], v[38:39], v[48:49]
	s_waitcnt vmcnt(9)
	v_mul_f64 v[164:165], v[12:13], v[52:53]
	s_waitcnt vmcnt(8)
	;; [unrolled: 2-line block ×3, first 2 shown]
	v_mul_f64 v[170:171], v[123:124], v[60:61]
	v_mul_f64 v[172:173], v[16:17], v[60:61]
	s_waitcnt vmcnt(6)
	v_mul_f64 v[174:175], v[125:126], v[64:65]
	v_mul_f64 v[176:177], v[34:35], v[64:65]
	;; [unrolled: 1-line block ×14, first 2 shown]
	s_waitcnt vmcnt(5)
	v_mul_f64 v[190:191], v[131:132], v[68:69]
	v_mul_f64 v[68:69], v[28:29], v[68:69]
	s_waitcnt vmcnt(4)
	v_mul_f64 v[192:193], v[113:114], v[72:73]
	v_mul_f64 v[72:73], v[10:11], v[72:73]
	;; [unrolled: 3-line block ×3, first 2 shown]
	v_fma_f64 v[4:5], v[4:5], v[42:43], -v[101:102]
	v_fma_f64 v[101:102], v[107:108], v[42:43], v[153:154]
	v_fma_f64 v[38:39], v[38:39], v[46:47], -v[155:156]
	v_fma_f64 v[107:108], v[109:110], v[46:47], v[160:161]
	v_fma_f64 v[109:110], v[115:116], v[50:51], v[164:165]
	;; [unrolled: 1-line block ×3, first 2 shown]
	v_fma_f64 v[16:17], v[16:17], v[58:59], -v[170:171]
	v_fma_f64 v[117:118], v[123:124], v[58:59], v[172:173]
	v_fma_f64 v[34:35], v[34:35], v[62:63], -v[174:175]
	v_fma_f64 v[123:124], v[125:126], v[62:63], v[176:177]
	v_mul_f64 v[188:189], v[127:128], v[64:65]
	v_mul_f64 v[64:65], v[36:37], v[64:65]
	s_waitcnt vmcnt(2)
	v_mul_f64 v[196:197], v[121:122], v[80:81]
	v_mul_f64 v[80:81], v[14:15], v[80:81]
	s_waitcnt vmcnt(1)
	v_mul_f64 v[198:199], v[139:140], v[84:85]
	v_mul_f64 v[84:85], v[20:21], v[84:85]
	v_fma_f64 v[12:13], v[12:13], v[50:51], -v[162:163]
	v_fma_f64 v[30:31], v[30:31], v[54:55], -v[166:167]
	;; [unrolled: 1-line block ×3, first 2 shown]
	v_fma_f64 v[42:43], v[129:130], v[42:43], v[44:45]
	v_fma_f64 v[40:41], v[40:41], v[46:47], -v[180:181]
	v_fma_f64 v[44:45], v[111:112], v[46:47], v[48:49]
	v_fma_f64 v[22:23], v[22:23], v[50:51], -v[182:183]
	v_fma_f64 v[46:47], v[133:134], v[50:51], v[52:53]
	v_fma_f64 v[32:33], v[32:33], v[54:55], -v[184:185]
	v_fma_f64 v[48:49], v[119:120], v[54:55], v[56:57]
	v_fma_f64 v[18:19], v[18:19], v[58:59], -v[186:187]
	v_fma_f64 v[50:51], v[137:138], v[58:59], v[60:61]
	v_fma_f64 v[54:55], v[131:132], v[66:67], v[68:69]
	v_fma_f64 v[10:11], v[10:11], v[70:71], -v[192:193]
	v_fma_f64 v[56:57], v[113:114], v[70:71], v[72:73]
	v_fma_f64 v[24:25], v[24:25], v[74:75], -v[194:195]
	v_fma_f64 v[58:59], v[135:136], v[74:75], v[76:77]
	v_add_f64 v[68:69], v[4:5], v[34:35]
	v_add_f64 v[70:71], v[101:102], v[123:124]
	;; [unrolled: 1-line block ×4, first 2 shown]
	v_fma_f64 v[36:37], v[36:37], v[62:63], -v[188:189]
	v_fma_f64 v[52:53], v[127:128], v[62:63], v[64:65]
	v_fma_f64 v[14:15], v[14:15], v[78:79], -v[196:197]
	v_fma_f64 v[60:61], v[121:122], v[78:79], v[80:81]
	;; [unrolled: 2-line block ×3, first 2 shown]
	v_add_f64 v[4:5], v[4:5], -v[34:35]
	v_add_f64 v[34:35], v[101:102], -v[123:124]
	;; [unrolled: 1-line block ×4, first 2 shown]
	v_add_f64 v[76:77], v[12:13], v[30:31]
	v_add_f64 v[78:79], v[109:110], v[115:116]
	v_add_f64 v[12:13], v[30:31], -v[12:13]
	v_add_f64 v[30:31], v[115:116], -v[109:110]
	v_add_f64 v[80:81], v[72:73], v[68:69]
	v_add_f64 v[82:83], v[74:75], v[70:71]
	v_fma_f64 v[28:29], v[28:29], v[66:67], -v[190:191]
	s_waitcnt vmcnt(0)
	v_mul_f64 v[64:65], v[0:1], v[88:89]
	v_mul_f64 v[66:67], v[90:91], v[88:89]
	v_add_f64 v[84:85], v[72:73], -v[68:69]
	v_add_f64 v[88:89], v[74:75], -v[70:71]
	;; [unrolled: 1-line block ×6, first 2 shown]
	v_add_f64 v[101:102], v[12:13], v[16:17]
	v_add_f64 v[107:108], v[30:31], v[38:39]
	v_add_f64 v[109:110], v[12:13], -v[16:17]
	v_add_f64 v[111:112], v[30:31], -v[38:39]
	v_add_f64 v[76:77], v[76:77], v[80:81]
	v_add_f64 v[78:79], v[78:79], v[82:83]
	v_add_f64 v[16:17], v[16:17], -v[4:5]
	v_add_f64 v[38:39], v[38:39], -v[34:35]
	;; [unrolled: 1-line block ×4, first 2 shown]
	v_add_f64 v[4:5], v[101:102], v[4:5]
	v_add_f64 v[34:35], v[107:108], v[34:35]
	;; [unrolled: 1-line block ×4, first 2 shown]
	v_mul_f64 v[68:69], v[68:69], s[4:5]
	v_mul_f64 v[70:71], v[70:71], s[4:5]
	;; [unrolled: 1-line block ×8, first 2 shown]
	v_fma_f64 v[76:77], v[76:77], s[14:15], v[6:7]
	v_fma_f64 v[78:79], v[78:79], s[14:15], v[80:81]
	;; [unrolled: 1-line block ×4, first 2 shown]
	v_fma_f64 v[82:83], v[84:85], s[16:17], -v[82:83]
	v_fma_f64 v[97:98], v[88:89], s[16:17], -v[97:98]
	;; [unrolled: 1-line block ×4, first 2 shown]
	v_fma_f64 v[84:85], v[12:13], s[20:21], v[101:102]
	v_fma_f64 v[88:89], v[30:31], s[20:21], v[107:108]
	v_fma_f64 v[16:17], v[16:17], s[6:7], -v[101:102]
	v_fma_f64 v[38:39], v[38:39], s[6:7], -v[107:108]
	;; [unrolled: 1-line block ×4, first 2 shown]
	v_add_f64 v[72:73], v[72:73], v[76:77]
	v_add_f64 v[74:75], v[74:75], v[78:79]
	;; [unrolled: 1-line block ×6, first 2 shown]
	v_fma_f64 v[76:77], v[34:35], s[22:23], v[88:89]
	v_fma_f64 v[78:79], v[4:5], s[22:23], v[84:85]
	;; [unrolled: 1-line block ×6, first 2 shown]
	v_fma_f64 v[16:17], v[90:91], v[86:87], -v[64:65]
	v_fma_f64 v[0:1], v[0:1], v[86:87], v[66:67]
	v_add_f64 v[38:39], v[76:77], v[72:73]
	v_add_f64 v[64:65], v[74:75], -v[78:79]
	v_add_f64 v[66:67], v[30:31], v[68:69]
	v_add_f64 v[84:85], v[70:71], -v[12:13]
	v_add_f64 v[86:87], v[82:83], -v[34:35]
	v_add_f64 v[88:89], v[4:5], v[97:98]
	v_add_f64 v[34:35], v[34:35], v[82:83]
	v_add_f64 v[82:83], v[97:98], -v[4:5]
	v_add_f64 v[4:5], v[68:69], -v[30:31]
	v_add_f64 v[68:69], v[12:13], v[70:71]
	v_add_f64 v[12:13], v[26:27], v[36:37]
	;; [unrolled: 1-line block ×3, first 2 shown]
	v_add_f64 v[26:27], v[26:27], -v[36:37]
	v_add_f64 v[36:37], v[42:43], -v[52:53]
	v_add_f64 v[42:43], v[40:41], v[18:19]
	v_add_f64 v[52:53], v[44:45], v[50:51]
	v_add_f64 v[18:19], v[40:41], -v[18:19]
	v_add_f64 v[40:41], v[44:45], -v[50:51]
	v_add_f64 v[44:45], v[22:23], v[32:33]
	v_add_f64 v[50:51], v[46:47], v[48:49]
	;; [unrolled: 4-line block ×3, first 2 shown]
	v_add_f64 v[70:71], v[42:43], -v[12:13]
	v_add_f64 v[90:91], v[52:53], -v[30:31]
	;; [unrolled: 1-line block ×6, first 2 shown]
	v_add_f64 v[97:98], v[22:23], v[18:19]
	v_add_f64 v[101:102], v[32:33], v[40:41]
	v_add_f64 v[107:108], v[22:23], -v[18:19]
	v_add_f64 v[109:110], v[32:33], -v[40:41]
	v_add_f64 v[44:45], v[44:45], v[46:47]
	v_add_f64 v[46:47], v[50:51], v[48:49]
	v_add_f64 v[18:19], v[18:19], -v[26:27]
	v_add_f64 v[40:41], v[40:41], -v[36:37]
	;; [unrolled: 1-line block ×4, first 2 shown]
	v_add_f64 v[26:27], v[97:98], v[26:27]
	v_add_f64 v[36:37], v[101:102], v[36:37]
	v_add_f64 v[8:9], v[8:9], v[44:45]
	v_add_f64 v[48:49], v[99:100], v[46:47]
	v_mul_f64 v[12:13], v[12:13], s[4:5]
	v_mul_f64 v[30:31], v[30:31], s[4:5]
	;; [unrolled: 1-line block ×8, first 2 shown]
	v_fma_f64 v[44:45], v[44:45], s[14:15], v[8:9]
	v_fma_f64 v[46:47], v[46:47], s[14:15], v[48:49]
	;; [unrolled: 1-line block ×4, first 2 shown]
	v_fma_f64 v[50:51], v[70:71], s[16:17], -v[50:51]
	v_fma_f64 v[97:98], v[90:91], s[16:17], -v[97:98]
	;; [unrolled: 1-line block ×4, first 2 shown]
	v_fma_f64 v[70:71], v[22:23], s[20:21], v[99:100]
	v_fma_f64 v[90:91], v[32:33], s[20:21], v[101:102]
	v_fma_f64 v[18:19], v[18:19], s[6:7], -v[99:100]
	v_fma_f64 v[40:41], v[40:41], s[6:7], -v[101:102]
	;; [unrolled: 1-line block ×4, first 2 shown]
	v_add_f64 v[42:43], v[42:43], v[44:45]
	v_add_f64 v[50:51], v[50:51], v[44:45]
	;; [unrolled: 1-line block ×5, first 2 shown]
	v_fma_f64 v[44:45], v[36:37], s[22:23], v[90:91]
	v_fma_f64 v[22:23], v[26:27], s[22:23], v[22:23]
	v_fma_f64 v[32:33], v[36:37], s[22:23], v[32:33]
	v_fma_f64 v[36:37], v[36:37], s[22:23], v[40:41]
	v_fma_f64 v[18:19], v[26:27], s[22:23], v[18:19]
	v_add_f64 v[52:53], v[52:53], v[46:47]
	v_fma_f64 v[46:47], v[26:27], s[22:23], v[70:71]
	v_add_f64 v[26:27], v[72:73], -v[76:77]
	v_add_f64 v[70:71], v[78:79], v[74:75]
	v_add_f64 v[76:77], v[30:31], -v[22:23]
	v_add_f64 v[74:75], v[32:33], v[12:13]
	;; [unrolled: 2-line block ×3, first 2 shown]
	v_add_f64 v[36:37], v[36:37], v[50:51]
	v_add_f64 v[50:51], v[97:98], -v[18:19]
	v_add_f64 v[97:98], v[22:23], v[30:31]
	v_add_f64 v[18:19], v[28:29], v[16:17]
	;; [unrolled: 1-line block ×3, first 2 shown]
	v_add_f64 v[16:17], v[28:29], -v[16:17]
	v_add_f64 v[28:29], v[10:11], v[20:21]
	v_add_f64 v[30:31], v[56:57], v[62:63]
	v_add_f64 v[12:13], v[12:13], -v[32:33]
	v_add_f64 v[0:1], v[54:55], -v[0:1]
	;; [unrolled: 1-line block ×4, first 2 shown]
	v_add_f64 v[32:33], v[24:25], v[14:15]
	v_add_f64 v[54:55], v[58:59], v[60:61]
	v_add_f64 v[14:15], v[14:15], -v[24:25]
	v_add_f64 v[24:25], v[60:61], -v[58:59]
	v_add_f64 v[56:57], v[28:29], v[18:19]
	v_add_f64 v[58:59], v[30:31], v[22:23]
	v_add_f64 v[60:61], v[28:29], -v[18:19]
	v_add_f64 v[62:63], v[30:31], -v[22:23]
	;; [unrolled: 1-line block ×6, first 2 shown]
	v_add_f64 v[99:100], v[14:15], v[10:11]
	v_add_f64 v[101:102], v[24:25], v[20:21]
	v_add_f64 v[109:110], v[24:25], -v[20:21]
	v_add_f64 v[32:33], v[32:33], v[56:57]
	v_add_f64 v[54:55], v[54:55], v[58:59]
	v_add_f64 v[20:21], v[20:21], -v[0:1]
	v_add_f64 v[107:108], v[14:15], -v[10:11]
	;; [unrolled: 1-line block ×5, first 2 shown]
	v_add_f64 v[16:17], v[99:100], v[16:17]
	v_add_f64 v[2:3], v[2:3], v[32:33]
	;; [unrolled: 1-line block ×3, first 2 shown]
	v_mul_f64 v[18:19], v[18:19], s[4:5]
	v_mul_f64 v[22:23], v[22:23], s[4:5]
	;; [unrolled: 1-line block ×6, first 2 shown]
	v_add_f64 v[0:1], v[101:102], v[0:1]
	v_mul_f64 v[101:102], v[107:108], s[10:11]
	v_mul_f64 v[107:108], v[10:11], s[6:7]
	v_fma_f64 v[32:33], v[32:33], s[14:15], v[2:3]
	v_fma_f64 v[28:29], v[28:29], s[2:3], v[18:19]
	;; [unrolled: 1-line block ×3, first 2 shown]
	v_fma_f64 v[58:59], v[60:61], s[16:17], -v[58:59]
	v_fma_f64 v[99:100], v[62:63], s[16:17], -v[99:100]
	;; [unrolled: 1-line block ×4, first 2 shown]
	v_fma_f64 v[62:63], v[24:25], s[20:21], v[105:106]
	v_fma_f64 v[20:21], v[20:21], s[6:7], -v[105:106]
	v_fma_f64 v[24:25], v[24:25], s[24:25], -v[109:110]
	v_fma_f64 v[54:55], v[54:55], s[14:15], v[56:57]
	v_fma_f64 v[10:11], v[10:11], s[6:7], -v[101:102]
	v_fma_f64 v[60:61], v[14:15], s[20:21], v[101:102]
	v_fma_f64 v[14:15], v[14:15], s[24:25], -v[107:108]
	v_add_f64 v[28:29], v[28:29], v[32:33]
	v_add_f64 v[58:59], v[58:59], v[32:33]
	;; [unrolled: 1-line block ×3, first 2 shown]
	v_fma_f64 v[32:33], v[0:1], s[22:23], v[62:63]
	v_fma_f64 v[24:25], v[0:1], s[22:23], v[24:25]
	;; [unrolled: 1-line block ×3, first 2 shown]
	v_add_f64 v[99:100], v[99:100], v[54:55]
	v_fma_f64 v[10:11], v[16:17], s[22:23], v[10:11]
	v_add_f64 v[22:23], v[22:23], v[54:55]
	v_fma_f64 v[14:15], v[16:17], s[22:23], v[14:15]
	v_add_f64 v[40:41], v[44:45], v[42:43]
	v_add_f64 v[72:73], v[52:53], -v[46:47]
	v_add_f64 v[30:31], v[30:31], v[54:55]
	v_fma_f64 v[54:55], v[16:17], s[22:23], v[60:61]
	v_add_f64 v[16:17], v[42:43], -v[44:45]
	v_add_f64 v[42:43], v[46:47], v[52:53]
	v_add_f64 v[20:21], v[32:33], v[28:29]
	;; [unrolled: 1-line block ×3, first 2 shown]
	v_add_f64 v[60:61], v[58:59], -v[0:1]
	v_add_f64 v[62:63], v[10:11], v[99:100]
	v_add_f64 v[0:1], v[0:1], v[58:59]
	v_add_f64 v[58:59], v[99:100], -v[10:11]
	v_add_f64 v[10:11], v[18:19], -v[24:25]
	;; [unrolled: 1-line block ×3, first 2 shown]
	v_add_f64 v[99:100], v[14:15], v[22:23]
	v_add_f64 v[14:15], v[28:29], -v[32:33]
	ds_write2_b64 v143, v[6:7], v[38:39] offset1:52
	ds_write2_b64 v143, v[66:67], v[86:87] offset0:104 offset1:156
	ds_write2_b64 v94, v[34:35], v[4:5] offset0:80 offset1:132
	;; [unrolled: 1-line block ×6, first 2 shown]
	v_lshl_add_u32 v66, v103, 3, 0
	v_add_u32_e32 v67, 0x1400, v66
	v_add_u32_e32 v74, 0x1800, v66
	v_add_f64 v[44:45], v[30:31], -v[54:55]
	v_add_f64 v[54:55], v[54:55], v[30:31]
	ds_write2_b64 v67, v[2:3], v[20:21] offset0:88 offset1:140
	ds_write2_b64 v74, v[46:47], v[60:61] offset0:64 offset1:116
	;; [unrolled: 1-line block ×3, first 2 shown]
	ds_write_b64 v66, v[14:15] offset:8320
	s_waitcnt lgkmcnt(0)
	; wave barrier
	s_waitcnt lgkmcnt(0)
	ds_read2_b64 v[0:3], v143 offset1:52
	ds_read2_b64 v[4:7], v92 offset0:56 offset1:108
	ds_read2_b64 v[8:11], v96 offset0:88 offset1:140
	;; [unrolled: 1-line block ×9, first 2 shown]
	ds_read_b64 v[40:41], v143 offset:8320
	s_waitcnt lgkmcnt(0)
	; wave barrier
	s_waitcnt lgkmcnt(0)
	ds_write2_b64 v143, v[80:81], v[64:65] offset1:52
	ds_write2_b64 v143, v[84:85], v[88:89] offset0:104 offset1:156
	ds_write2_b64 v94, v[82:83], v[68:69] offset0:80 offset1:132
	ds_write2_b64 v92, v[70:71], v[48:49] offset0:56 offset1:108
	ds_write2_b64 v92, v[72:73], v[76:77] offset0:160 offset1:212
	ds_write2_b64 v93, v[90:91], v[50:51] offset0:8 offset1:60
	ds_write2_b64 v93, v[97:98], v[42:43] offset0:112 offset1:164
	ds_write2_b64 v67, v[56:57], v[44:45] offset0:88 offset1:140
	ds_write2_b64 v74, v[52:53], v[62:63] offset0:64 offset1:116
	ds_write2_b64 v74, v[58:59], v[99:100] offset0:168 offset1:220
	ds_write_b64 v66, v[54:55] offset:8320
	s_waitcnt lgkmcnt(0)
	; wave barrier
	s_waitcnt lgkmcnt(0)
	s_and_saveexec_b64 s[2:3], s[0:1]
	s_cbranch_execz .LBB0_35
; %bb.34:
	v_mov_b32_e32 v105, 0
	v_lshlrev_b64 v[42:43], 4, v[104:105]
	v_mov_b32_e32 v98, s9
	v_add_co_u32_e32 v42, vcc, s8, v42
	v_addc_co_u32_e32 v43, vcc, v98, v43, vcc
	v_add_co_u32_e32 v50, vcc, 0x16a0, v42
	v_addc_co_u32_e32 v51, vcc, 0, v43, vcc
	;; [unrolled: 2-line block ×3, first 2 shown]
	v_mov_b32_e32 v153, v105
	global_load_dwordx4 v[42:45], v[52:53], off offset:1696
	global_load_dwordx4 v[46:49], v[50:51], off offset:16
	v_lshlrev_b64 v[50:51], 4, v[152:153]
	s_movk_i32 s5, 0x16a0
	v_add_co_u32_e32 v50, vcc, s8, v50
	v_addc_co_u32_e32 v51, vcc, v98, v51, vcc
	v_add_co_u32_e32 v58, vcc, s5, v50
	s_movk_i32 s4, 0x1000
	v_addc_co_u32_e32 v59, vcc, 0, v51, vcc
	v_add_co_u32_e32 v60, vcc, s4, v50
	v_addc_co_u32_e32 v61, vcc, 0, v51, vcc
	global_load_dwordx4 v[50:53], v[60:61], off offset:1696
	global_load_dwordx4 v[54:57], v[58:59], off offset:16
	v_mov_b32_e32 v152, v105
	v_lshlrev_b64 v[58:59], 4, v[151:152]
	ds_read_b64 v[82:83], v143 offset:8320
	v_add_co_u32_e32 v58, vcc, s8, v58
	v_addc_co_u32_e32 v59, vcc, v98, v59, vcc
	v_add_co_u32_e32 v66, vcc, s5, v58
	v_addc_co_u32_e32 v67, vcc, 0, v59, vcc
	;; [unrolled: 2-line block ×3, first 2 shown]
	global_load_dwordx4 v[58:61], v[68:69], off offset:1696
	global_load_dwordx4 v[62:65], v[66:67], off offset:16
	v_mov_b32_e32 v151, v105
	v_add_u32_e32 v94, 0x1000, v143
	v_lshlrev_b64 v[84:85], 4, v[150:151]
	v_add_u32_e32 v104, 0x800, v143
	v_add_u32_e32 v120, 0x1800, v143
	v_add_u32_e32 v78, 0x400, v143
	ds_read2_b64 v[66:69], v94 offset0:112 offset1:164
	ds_read2_b64 v[70:73], v104 offset0:56 offset1:108
	v_mov_b32_e32 v149, v105
	ds_read2_b64 v[74:77], v120 offset0:168 offset1:220
	ds_read2_b64 v[78:81], v78 offset0:80 offset1:132
	v_lshlrev_b64 v[86:87], 4, v[148:149]
	v_add_co_u32_e32 v95, vcc, s8, v84
	v_addc_co_u32_e32 v96, vcc, v98, v85, vcc
	v_add_co_u32_e32 v97, vcc, s8, v86
	v_addc_co_u32_e32 v99, vcc, v98, v87, vcc
	;; [unrolled: 2-line block ×3, first 2 shown]
	s_mov_b32 s0, 0xe8584caa
	s_mov_b32 s1, 0x3febb67a
	;; [unrolled: 1-line block ×4, first 2 shown]
	v_mov_b32_e32 v148, v105
	s_waitcnt vmcnt(5) lgkmcnt(3)
	v_mul_f64 v[84:85], v[42:43], v[68:69]
	s_waitcnt vmcnt(4)
	v_mul_f64 v[86:87], v[46:47], v[82:83]
	v_mul_f64 v[68:69], v[44:45], v[68:69]
	;; [unrolled: 1-line block ×3, first 2 shown]
	v_fma_f64 v[84:85], v[38:39], v[44:45], v[84:85]
	v_fma_f64 v[86:87], v[40:41], v[48:49], v[86:87]
	s_waitcnt vmcnt(3)
	v_mul_f64 v[88:89], v[52:53], v[66:67]
	s_waitcnt vmcnt(2) lgkmcnt(1)
	v_mul_f64 v[90:91], v[56:57], v[76:77]
	v_mul_f64 v[76:77], v[54:55], v[76:77]
	;; [unrolled: 1-line block ×3, first 2 shown]
	v_fma_f64 v[100:101], v[36:37], v[50:51], -v[88:89]
	v_fma_f64 v[102:103], v[34:35], v[54:55], -v[90:91]
	v_fma_f64 v[108:109], v[34:35], v[56:57], v[76:77]
	v_fma_f64 v[34:35], v[38:39], v[42:43], -v[68:69]
	v_add_co_u32_e32 v38, vcc, s4, v95
	v_addc_co_u32_e32 v39, vcc, 0, v96, vcc
	v_fma_f64 v[106:107], v[36:37], v[52:53], v[66:67]
	v_fma_f64 v[66:67], v[40:41], v[46:47], -v[82:83]
	global_load_dwordx4 v[42:45], v[38:39], off offset:1696
	global_load_dwordx4 v[46:49], v[92:93], off offset:16
	v_add_f64 v[36:37], v[84:85], v[86:87]
	v_add_f64 v[76:77], v[4:5], v[34:35]
	;; [unrolled: 1-line block ×4, first 2 shown]
	s_waitcnt vmcnt(2)
	v_mul_f64 v[114:115], v[64:65], v[74:75]
	v_add_f64 v[38:39], v[106:107], v[108:109]
	v_add_f64 v[40:41], v[34:35], -v[66:67]
	v_add_f64 v[50:51], v[34:35], v[66:67]
	v_fma_f64 v[52:53], v[36:37], -0.5, v[70:71]
	v_add_co_u32_e32 v34, vcc, s5, v97
	v_addc_co_u32_e32 v35, vcc, 0, v99, vcc
	s_waitcnt lgkmcnt(0)
	v_fma_f64 v[112:113], v[38:39], -0.5, v[80:81]
	v_add_co_u32_e32 v38, vcc, s4, v97
	v_addc_co_u32_e32 v39, vcc, 0, v99, vcc
	v_add_f64 v[70:71], v[84:85], -v[86:87]
	v_fma_f64 v[4:5], v[50:51], -0.5, v[4:5]
	v_fma_f64 v[36:37], v[40:41], s[0:1], v[52:53]
	v_fma_f64 v[40:41], v[40:41], s[2:3], v[52:53]
	global_load_dwordx4 v[50:53], v[38:39], off offset:1696
	global_load_dwordx4 v[54:57], v[34:35], off offset:16
	ds_read2_b64 v[82:85], v94 offset0:8 offset1:60
	v_add_f64 v[68:69], v[86:87], v[68:69]
	v_mul_f64 v[74:75], v[62:63], v[74:75]
	v_add_f64 v[110:111], v[100:101], -v[102:103]
	v_fma_f64 v[34:35], v[70:71], s[2:3], v[4:5]
	v_fma_f64 v[38:39], v[70:71], s[0:1], v[4:5]
	v_add_f64 v[4:5], v[106:107], v[80:81]
	s_waitcnt lgkmcnt(0)
	v_mul_f64 v[80:81], v[60:61], v[84:85]
	v_mul_f64 v[92:93], v[58:59], v[84:85]
	v_lshlrev_b64 v[84:85], 4, v[147:148]
	v_fma_f64 v[70:71], v[88:89], -0.5, v[26:27]
	v_add_co_u32_e32 v84, vcc, s8, v84
	v_addc_co_u32_e32 v85, vcc, v98, v85, vcc
	v_add_co_u32_e32 v94, vcc, s5, v84
	v_addc_co_u32_e32 v95, vcc, 0, v85, vcc
	v_add_co_u32_e32 v96, vcc, s4, v84
	v_addc_co_u32_e32 v97, vcc, 0, v85, vcc
	global_load_dwordx4 v[84:87], v[96:97], off offset:1696
	global_load_dwordx4 v[88:91], v[94:95], off offset:16
	v_mov_b32_e32 v147, v105
	v_fma_f64 v[116:117], v[30:31], v[60:61], v[92:93]
	v_lshlrev_b64 v[60:61], 4, v[146:147]
	v_fma_f64 v[118:119], v[32:33], v[64:65], v[74:75]
	v_add_co_u32_e32 v64, vcc, s8, v60
	v_addc_co_u32_e32 v65, vcc, v98, v61, vcc
	v_add_co_u32_e32 v60, vcc, s5, v64
	v_addc_co_u32_e32 v61, vcc, 0, v65, vcc
	;; [unrolled: 2-line block ×3, first 2 shown]
	global_load_dwordx4 v[92:95], v[64:65], off offset:1696
	global_load_dwordx4 v[96:99], v[60:61], off offset:16
	v_add_f64 v[106:107], v[106:107], -v[108:109]
	v_add_f64 v[26:27], v[26:27], v[100:101]
	v_add_f64 v[64:65], v[108:109], v[4:5]
	v_fma_f64 v[4:5], v[30:31], v[58:59], -v[80:81]
	v_fma_f64 v[100:101], v[32:33], v[62:63], -v[114:115]
	ds_read2_b64 v[30:33], v120 offset0:64 offset1:116
	v_add_f64 v[80:81], v[116:117], v[118:119]
	v_add_f64 v[66:67], v[76:77], v[66:67]
	v_fma_f64 v[74:75], v[106:107], s[2:3], v[70:71]
	v_fma_f64 v[58:59], v[106:107], s[0:1], v[70:71]
	v_add_f64 v[62:63], v[26:27], v[102:103]
	v_fma_f64 v[76:77], v[110:111], s[0:1], v[112:113]
	v_add_f64 v[106:107], v[4:5], -v[100:101]
	v_add_f64 v[102:103], v[4:5], v[100:101]
	s_waitcnt vmcnt(7)
	v_mul_f64 v[26:27], v[42:43], v[82:83]
	s_waitcnt vmcnt(6) lgkmcnt(0)
	v_mul_f64 v[70:71], v[46:47], v[32:33]
	v_mul_f64 v[82:83], v[44:45], v[82:83]
	;; [unrolled: 1-line block ×3, first 2 shown]
	v_fma_f64 v[80:81], v[80:81], -0.5, v[78:79]
	v_add_f64 v[78:79], v[116:117], v[78:79]
	v_add_f64 v[4:5], v[24:25], v[4:5]
	v_fma_f64 v[60:61], v[110:111], s[2:3], v[112:113]
	v_fma_f64 v[108:109], v[28:29], v[44:45], v[26:27]
	;; [unrolled: 1-line block ×3, first 2 shown]
	v_fma_f64 v[28:29], v[28:29], v[42:43], -v[82:83]
	v_fma_f64 v[22:23], v[22:23], v[46:47], -v[32:33]
	ds_read2_b64 v[46:49], v104 offset0:160 offset1:212
	v_fma_f64 v[44:45], v[106:107], s[0:1], v[80:81]
	v_fma_f64 v[26:27], v[106:107], s[2:3], v[80:81]
	v_add_f64 v[32:33], v[118:119], v[78:79]
	ds_read2_b64 v[78:81], v143 offset0:104 offset1:156
	v_add_f64 v[82:83], v[108:109], v[70:71]
	v_add_f64 v[110:111], v[116:117], -v[118:119]
	v_fma_f64 v[102:103], v[102:103], -0.5, v[24:25]
	v_add_f64 v[114:115], v[28:29], -v[22:23]
	v_add_f64 v[118:119], v[28:29], v[22:23]
	v_or_b32_e32 v104, 0x340, v142
	s_waitcnt vmcnt(5) lgkmcnt(1)
	v_mul_f64 v[106:107], v[50:51], v[48:49]
	s_waitcnt vmcnt(4)
	v_mul_f64 v[112:113], v[54:55], v[30:31]
	v_mul_f64 v[116:117], v[56:57], v[30:31]
	v_add_f64 v[30:31], v[4:5], v[100:101]
	s_waitcnt lgkmcnt(0)
	v_add_f64 v[4:5], v[108:109], v[80:81]
	v_fma_f64 v[82:83], v[82:83], -0.5, v[80:81]
	v_mul_f64 v[48:49], v[52:53], v[48:49]
	v_fma_f64 v[42:43], v[110:111], s[2:3], v[102:103]
	v_fma_f64 v[106:107], v[18:19], v[52:53], v[106:107]
	;; [unrolled: 1-line block ×3, first 2 shown]
	v_fma_f64 v[112:113], v[20:21], v[54:55], -v[116:117]
	v_fma_f64 v[24:25], v[110:111], s[0:1], v[102:103]
	v_add_f64 v[54:55], v[70:71], v[4:5]
	v_add_f64 v[4:5], v[14:15], v[28:29]
	v_add_u32_e32 v28, 0x1400, v143
	v_fma_f64 v[110:111], v[18:19], v[50:51], -v[48:49]
	v_fma_f64 v[20:21], v[114:115], s[0:1], v[82:83]
	v_fma_f64 v[50:51], v[114:115], s[2:3], v[82:83]
	ds_read2_b64 v[80:83], v28 offset0:88 offset1:140
	v_fma_f64 v[48:49], v[118:119], -0.5, v[14:15]
	v_add_f64 v[18:19], v[106:107], v[56:57]
	v_add_f64 v[52:53], v[108:109], -v[70:71]
	v_add_f64 v[14:15], v[110:111], -v[112:113]
	s_waitcnt vmcnt(3)
	v_mul_f64 v[70:71], v[84:85], v[46:47]
	s_waitcnt vmcnt(2) lgkmcnt(0)
	v_mul_f64 v[100:101], v[88:89], v[82:83]
	v_mul_f64 v[46:47], v[86:87], v[46:47]
	v_fma_f64 v[28:29], v[18:19], -0.5, v[78:79]
	v_fma_f64 v[18:19], v[52:53], s[2:3], v[48:49]
	v_fma_f64 v[48:49], v[52:53], s[0:1], v[48:49]
	v_add_f64 v[52:53], v[4:5], v[22:23]
	v_add_f64 v[4:5], v[106:107], v[78:79]
	;; [unrolled: 1-line block ×3, first 2 shown]
	v_mul_f64 v[78:79], v[90:91], v[82:83]
	v_fma_f64 v[70:71], v[16:17], v[86:87], v[70:71]
	v_fma_f64 v[90:91], v[10:11], v[90:91], v[100:101]
	;; [unrolled: 1-line block ×4, first 2 shown]
	v_fma_f64 v[16:17], v[16:17], v[84:85], -v[46:47]
	v_add_f64 v[82:83], v[56:57], v[4:5]
	v_fma_f64 v[4:5], v[22:23], -0.5, v[12:13]
	v_add_f64 v[22:23], v[106:107], -v[56:57]
	v_fma_f64 v[10:11], v[10:11], v[88:89], -v[78:79]
	v_add_f64 v[28:29], v[70:71], v[90:91]
	s_waitcnt vmcnt(1)
	v_mul_f64 v[46:47], v[92:93], v[72:73]
	s_waitcnt vmcnt(0)
	v_mul_f64 v[56:57], v[96:97], v[80:81]
	v_mul_f64 v[72:73], v[94:95], v[72:73]
	;; [unrolled: 1-line block ×3, first 2 shown]
	ds_read2_b64 v[84:87], v143 offset1:52
	v_fma_f64 v[100:101], v[22:23], s[2:3], v[4:5]
	v_add_f64 v[88:89], v[16:17], -v[10:11]
	v_add_f64 v[80:81], v[12:13], v[110:111]
	v_fma_f64 v[46:47], v[6:7], v[94:95], v[46:47]
	s_waitcnt lgkmcnt(0)
	v_fma_f64 v[28:29], v[28:29], -0.5, v[86:87]
	v_fma_f64 v[56:57], v[8:9], v[98:99], v[56:57]
	v_fma_f64 v[6:7], v[6:7], v[92:93], -v[72:73]
	v_fma_f64 v[78:79], v[8:9], v[96:97], -v[78:79]
	v_add_f64 v[72:73], v[16:17], v[10:11]
	v_fma_f64 v[12:13], v[22:23], s[0:1], v[4:5]
	v_add_f64 v[22:23], v[70:71], v[86:87]
	v_add_f64 v[70:71], v[70:71], -v[90:91]
	v_fma_f64 v[4:5], v[88:89], s[0:1], v[28:29]
	v_add_f64 v[86:87], v[46:47], v[56:57]
	v_fma_f64 v[8:9], v[88:89], s[2:3], v[28:29]
	v_add_f64 v[28:29], v[6:7], v[78:79]
	v_fma_f64 v[88:89], v[72:73], -0.5, v[2:3]
	v_add_f64 v[16:17], v[2:3], v[16:17]
	v_add_f64 v[72:73], v[90:91], v[22:23]
	v_add_f64 v[22:23], v[6:7], -v[78:79]
	v_mov_b32_e32 v143, v105
	v_fma_f64 v[90:91], v[86:87], -0.5, v[84:85]
	v_add_f64 v[84:85], v[46:47], v[84:85]
	v_fma_f64 v[28:29], v[28:29], -0.5, v[0:1]
	v_add_f64 v[0:1], v[0:1], v[6:7]
	v_add_f64 v[46:47], v[46:47], -v[56:57]
	v_fma_f64 v[2:3], v[70:71], s[2:3], v[88:89]
	v_fma_f64 v[6:7], v[70:71], s[0:1], v[88:89]
	v_add_f64 v[70:71], v[16:17], v[10:11]
	v_fma_f64 v[86:87], v[22:23], s[0:1], v[90:91]
	v_fma_f64 v[90:91], v[22:23], s[2:3], v[90:91]
	v_add_co_u32_e32 v22, vcc, s12, v144
	v_add_f64 v[92:93], v[0:1], v[78:79]
	v_mov_b32_e32 v0, s13
	v_add_f64 v[94:95], v[56:57], v[84:85]
	v_fma_f64 v[84:85], v[46:47], s[2:3], v[28:29]
	v_fma_f64 v[88:89], v[46:47], s[0:1], v[28:29]
	v_addc_co_u32_e32 v23, vcc, v0, v145, vcc
	v_lshlrev_b64 v[0:1], 4, v[142:143]
	v_add_f64 v[80:81], v[80:81], v[112:113]
	v_add_co_u32_e32 v0, vcc, v22, v0
	v_addc_co_u32_e32 v1, vcc, v23, v1, vcc
	v_add_co_u32_e32 v10, vcc, s4, v0
	v_addc_co_u32_e32 v11, vcc, 0, v1, vcc
	s_movk_i32 s0, 0x2000
	v_add_co_u32_e32 v16, vcc, s0, v0
	v_addc_co_u32_e32 v17, vcc, 0, v1, vcc
	s_movk_i32 s1, 0x3000
	global_store_dwordx4 v[0:1], v[92:95], off
	global_store_dwordx4 v[10:11], v[88:91], off offset:1728
	global_store_dwordx4 v[16:17], v[84:87], off offset:3456
	;; [unrolled: 1-line block ×4, first 2 shown]
	s_mov_b32 s2, 0x5a05a05b
	v_add_co_u32_e32 v6, vcc, s1, v0
	v_addc_co_u32_e32 v7, vcc, 0, v1, vcc
	global_store_dwordx4 v[6:7], v[2:5], off offset:192
	global_store_dwordx4 v[0:1], v[80:83], off offset:1664
	;; [unrolled: 1-line block ×3, first 2 shown]
	v_lshlrev_b64 v[2:3], 4, v[104:105]
	s_movk_i32 s3, 0x2d8
	v_add_co_u32_e32 v2, vcc, v22, v2
	v_addc_co_u32_e32 v3, vcc, v23, v3, vcc
	global_store_dwordx4 v[2:3], v[100:103], off
	v_lshrrev_b32_e32 v2, 2, v159
	v_mul_hi_u32 v2, v2, s2
	global_store_dwordx4 v[0:1], v[52:55], off offset:2496
	global_store_dwordx4 v[16:17], v[48:51], off offset:128
	;; [unrolled: 1-line block ×3, first 2 shown]
	v_lshrrev_b32_e32 v2, 5, v2
	v_mul_u32_u24_e32 v104, 0x2d8, v2
	v_lshlrev_b64 v[2:3], 4, v[104:105]
	v_add_co_u32_e32 v0, vcc, v0, v2
	v_addc_co_u32_e32 v1, vcc, v1, v3, vcc
	v_add_co_u32_e32 v2, vcc, s0, v0
	v_addc_co_u32_e32 v3, vcc, 0, v1, vcc
	global_store_dwordx4 v[2:3], v[24:27], off offset:960
	v_lshrrev_b32_e32 v2, 2, v158
	v_mul_hi_u32 v2, v2, s2
	global_store_dwordx4 v[0:1], v[30:33], off offset:3328
	v_add_co_u32_e32 v0, vcc, s1, v0
	v_addc_co_u32_e32 v1, vcc, 0, v1, vcc
	global_store_dwordx4 v[0:1], v[42:45], off offset:2688
	v_lshrrev_b32_e32 v0, 5, v2
	v_mad_u32_u24 v104, v0, s3, v158
	v_lshlrev_b64 v[0:1], 4, v[104:105]
	v_add_co_u32_e32 v0, vcc, v22, v0
	v_addc_co_u32_e32 v1, vcc, v23, v1, vcc
	v_add_co_u32_e32 v2, vcc, s4, v0
	v_addc_co_u32_e32 v3, vcc, 0, v1, vcc
	global_store_dwordx4 v[2:3], v[58:61], off offset:1728
	v_lshrrev_b32_e32 v2, 2, v157
	v_mul_hi_u32 v2, v2, s2
	global_store_dwordx4 v[0:1], v[62:65], off
	v_add_co_u32_e32 v0, vcc, s0, v0
	v_addc_co_u32_e32 v1, vcc, 0, v1, vcc
	global_store_dwordx4 v[0:1], v[74:77], off offset:3456
	v_lshrrev_b32_e32 v0, 5, v2
	v_mad_u32_u24 v104, v0, s3, v157
	v_lshlrev_b64 v[0:1], 4, v[104:105]
	v_add_co_u32_e32 v0, vcc, v22, v0
	v_addc_co_u32_e32 v1, vcc, v23, v1, vcc
	v_add_co_u32_e32 v2, vcc, 0x1000, v0
	v_addc_co_u32_e32 v3, vcc, 0, v1, vcc
	global_store_dwordx4 v[0:1], v[66:69], off
	v_add_co_u32_e32 v0, vcc, 0x2000, v0
	v_addc_co_u32_e32 v1, vcc, 0, v1, vcc
	global_store_dwordx4 v[2:3], v[38:41], off offset:1728
	global_store_dwordx4 v[0:1], v[34:37], off offset:3456
.LBB0_35:
	s_endpgm
	.section	.rodata,"a",@progbits
	.p2align	6, 0x0
	.amdhsa_kernel fft_rtc_fwd_len1092_factors_2_2_13_7_3_wgs_52_tpt_52_halfLds_dp_ip_CI_unitstride_sbrr_dirReg
		.amdhsa_group_segment_fixed_size 0
		.amdhsa_private_segment_fixed_size 0
		.amdhsa_kernarg_size 88
		.amdhsa_user_sgpr_count 6
		.amdhsa_user_sgpr_private_segment_buffer 1
		.amdhsa_user_sgpr_dispatch_ptr 0
		.amdhsa_user_sgpr_queue_ptr 0
		.amdhsa_user_sgpr_kernarg_segment_ptr 1
		.amdhsa_user_sgpr_dispatch_id 0
		.amdhsa_user_sgpr_flat_scratch_init 0
		.amdhsa_user_sgpr_private_segment_size 0
		.amdhsa_uses_dynamic_stack 0
		.amdhsa_system_sgpr_private_segment_wavefront_offset 0
		.amdhsa_system_sgpr_workgroup_id_x 1
		.amdhsa_system_sgpr_workgroup_id_y 0
		.amdhsa_system_sgpr_workgroup_id_z 0
		.amdhsa_system_sgpr_workgroup_info 0
		.amdhsa_system_vgpr_workitem_id 0
		.amdhsa_next_free_vgpr 253
		.amdhsa_next_free_sgpr 46
		.amdhsa_reserve_vcc 1
		.amdhsa_reserve_flat_scratch 0
		.amdhsa_float_round_mode_32 0
		.amdhsa_float_round_mode_16_64 0
		.amdhsa_float_denorm_mode_32 3
		.amdhsa_float_denorm_mode_16_64 3
		.amdhsa_dx10_clamp 1
		.amdhsa_ieee_mode 1
		.amdhsa_fp16_overflow 0
		.amdhsa_exception_fp_ieee_invalid_op 0
		.amdhsa_exception_fp_denorm_src 0
		.amdhsa_exception_fp_ieee_div_zero 0
		.amdhsa_exception_fp_ieee_overflow 0
		.amdhsa_exception_fp_ieee_underflow 0
		.amdhsa_exception_fp_ieee_inexact 0
		.amdhsa_exception_int_div_zero 0
	.end_amdhsa_kernel
	.text
.Lfunc_end0:
	.size	fft_rtc_fwd_len1092_factors_2_2_13_7_3_wgs_52_tpt_52_halfLds_dp_ip_CI_unitstride_sbrr_dirReg, .Lfunc_end0-fft_rtc_fwd_len1092_factors_2_2_13_7_3_wgs_52_tpt_52_halfLds_dp_ip_CI_unitstride_sbrr_dirReg
                                        ; -- End function
	.section	.AMDGPU.csdata,"",@progbits
; Kernel info:
; codeLenInByte = 17988
; NumSgprs: 50
; NumVgprs: 253
; ScratchSize: 0
; MemoryBound: 1
; FloatMode: 240
; IeeeMode: 1
; LDSByteSize: 0 bytes/workgroup (compile time only)
; SGPRBlocks: 6
; VGPRBlocks: 63
; NumSGPRsForWavesPerEU: 50
; NumVGPRsForWavesPerEU: 253
; Occupancy: 1
; WaveLimiterHint : 1
; COMPUTE_PGM_RSRC2:SCRATCH_EN: 0
; COMPUTE_PGM_RSRC2:USER_SGPR: 6
; COMPUTE_PGM_RSRC2:TRAP_HANDLER: 0
; COMPUTE_PGM_RSRC2:TGID_X_EN: 1
; COMPUTE_PGM_RSRC2:TGID_Y_EN: 0
; COMPUTE_PGM_RSRC2:TGID_Z_EN: 0
; COMPUTE_PGM_RSRC2:TIDIG_COMP_CNT: 0
	.type	__hip_cuid_3ffc32f989baccf7,@object ; @__hip_cuid_3ffc32f989baccf7
	.section	.bss,"aw",@nobits
	.globl	__hip_cuid_3ffc32f989baccf7
__hip_cuid_3ffc32f989baccf7:
	.byte	0                               ; 0x0
	.size	__hip_cuid_3ffc32f989baccf7, 1

	.ident	"AMD clang version 19.0.0git (https://github.com/RadeonOpenCompute/llvm-project roc-6.4.0 25133 c7fe45cf4b819c5991fe208aaa96edf142730f1d)"
	.section	".note.GNU-stack","",@progbits
	.addrsig
	.addrsig_sym __hip_cuid_3ffc32f989baccf7
	.amdgpu_metadata
---
amdhsa.kernels:
  - .args:
      - .actual_access:  read_only
        .address_space:  global
        .offset:         0
        .size:           8
        .value_kind:     global_buffer
      - .offset:         8
        .size:           8
        .value_kind:     by_value
      - .actual_access:  read_only
        .address_space:  global
        .offset:         16
        .size:           8
        .value_kind:     global_buffer
      - .actual_access:  read_only
        .address_space:  global
        .offset:         24
        .size:           8
        .value_kind:     global_buffer
      - .offset:         32
        .size:           8
        .value_kind:     by_value
      - .actual_access:  read_only
        .address_space:  global
        .offset:         40
        .size:           8
        .value_kind:     global_buffer
      - .actual_access:  read_only
        .address_space:  global
        .offset:         48
        .size:           8
        .value_kind:     global_buffer
      - .offset:         56
        .size:           4
        .value_kind:     by_value
      - .actual_access:  read_only
        .address_space:  global
        .offset:         64
        .size:           8
        .value_kind:     global_buffer
      - .actual_access:  read_only
        .address_space:  global
        .offset:         72
        .size:           8
        .value_kind:     global_buffer
      - .address_space:  global
        .offset:         80
        .size:           8
        .value_kind:     global_buffer
    .group_segment_fixed_size: 0
    .kernarg_segment_align: 8
    .kernarg_segment_size: 88
    .language:       OpenCL C
    .language_version:
      - 2
      - 0
    .max_flat_workgroup_size: 52
    .name:           fft_rtc_fwd_len1092_factors_2_2_13_7_3_wgs_52_tpt_52_halfLds_dp_ip_CI_unitstride_sbrr_dirReg
    .private_segment_fixed_size: 0
    .sgpr_count:     50
    .sgpr_spill_count: 0
    .symbol:         fft_rtc_fwd_len1092_factors_2_2_13_7_3_wgs_52_tpt_52_halfLds_dp_ip_CI_unitstride_sbrr_dirReg.kd
    .uniform_work_group_size: 1
    .uses_dynamic_stack: false
    .vgpr_count:     253
    .vgpr_spill_count: 0
    .wavefront_size: 64
amdhsa.target:   amdgcn-amd-amdhsa--gfx906
amdhsa.version:
  - 1
  - 2
...

	.end_amdgpu_metadata
